;; amdgpu-corpus repo=zjin-lcf/HeCBench kind=compiled arch=gfx1100 opt=O3
	.text
	.amdgcn_target "amdgcn-amd-amdhsa--gfx1100"
	.amdhsa_code_object_version 6
	.protected	_Z16shuffling_kernelPhPKhjj ; -- Begin function _Z16shuffling_kernelPhPKhjj
	.globl	_Z16shuffling_kernelPhPKhjj
	.p2align	8
	.type	_Z16shuffling_kernelPhPKhjj,@function
_Z16shuffling_kernelPhPKhjj:            ; @_Z16shuffling_kernelPhPKhjj
; %bb.0:
	s_clause 0x2
	s_load_b32 s8, s[0:1], 0x24
	s_load_b128 s[4:7], s[0:1], 0x0
	s_load_b64 s[2:3], s[0:1], 0x10
	v_mov_b32_e32 v7, 0
	s_mov_b32 s1, 0
	s_waitcnt lgkmcnt(0)
	s_and_b32 s0, s8, 0xffff
	s_delay_alu instid0(SALU_CYCLE_1) | instskip(SKIP_3) | instid1(VALU_DEP_3)
	v_mad_u64_u32 v[2:3], null, s15, s0, v[0:1]
	v_mov_b32_e32 v3, 0
	v_mov_b32_e32 v4, 0
	s_cmp_eq_u32 s2, 0
	v_add_co_u32 v0, s0, s4, v2
	s_delay_alu instid0(VALU_DEP_1)
	v_add_co_ci_u32_e64 v1, null, s5, 0, s0
	s_cbranch_scc1 .LBB0_3
; %bb.1:
	s_delay_alu instid0(VALU_DEP_1)
	v_dual_mov_b32 v6, v1 :: v_dual_mov_b32 v5, v0
	s_mov_b32 s0, s2
	s_mov_b32 s8, s3
	.p2align	6
.LBB0_2:                                ; =>This Inner Loop Header: Depth=1
	global_load_u8 v8, v7, s[6:7]
	s_add_u32 s0, s0, -1
	s_addc_u32 s1, s1, -1
	s_add_u32 s6, s6, 1
	s_addc_u32 s7, s7, 0
	s_cmp_lg_u64 s[0:1], 0
	s_waitcnt vmcnt(0)
	global_store_b8 v[5:6], v8, off
	v_and_b32_e32 v8, 0xff, v8
	v_add_co_u32 v5, vcc_lo, v5, s8
	v_add_co_ci_u32_e32 v6, vcc_lo, 0, v6, vcc_lo
	s_delay_alu instid0(VALU_DEP_3)
	v_add_co_u32 v3, vcc_lo, v3, v8
	v_add_co_ci_u32_e32 v4, vcc_lo, 0, v4, vcc_lo
	s_cbranch_scc1 .LBB0_2
.LBB0_3:
	s_add_i32 s0, s2, -1
	s_mov_b32 s1, 0
	s_cmp_eq_u32 s0, 0
	s_cbranch_scc1 .LBB0_8
; %bb.4:
	s_mul_i32 s6, s3, s0
	s_mov_b32 s2, s3
	s_mul_hi_u32 s3, s3, s0
	s_add_u32 s4, s4, s6
	v_xor_b32_e32 v5, 0, v4
	v_xor_b32_e32 v4, v3, v2
	s_addc_u32 s3, s5, s3
	v_add_co_u32 v2, s4, s4, v2
	s_delay_alu instid0(VALU_DEP_1)
	v_add_co_ci_u32_e64 v3, null, s3, 0, s4
	v_mov_b32_e32 v7, 0
	s_sub_u32 s3, 0, s2
	s_subb_u32 s4, 0, 0
	s_branch .LBB0_6
.LBB0_5:                                ;   in Loop: Header=BB0_6 Depth=1
	s_or_b32 exec_lo, exec_lo, s5
	s_delay_alu instid0(VALU_DEP_1)
	v_mad_u64_u32 v[10:11], null, v6, s2, v[0:1]
	v_mul_lo_u32 v4, 0x26f19d38, v4
	v_mul_lo_u32 v5, 0xe48e2825, v5
	s_add_u32 s0, s0, -1
	s_addc_u32 s1, s1, -1
	global_load_u8 v6, v[2:3], off
	global_load_u8 v12, v[10:11], off
	s_cmp_lg_u64 s[0:1], 0
	s_waitcnt vmcnt(1)
	global_store_b8 v[10:11], v6, off
	s_waitcnt vmcnt(0)
	global_store_b8 v[2:3], v12, off
	v_add3_u32 v9, v5, v9, v4
	v_add_co_u32 v2, vcc_lo, v2, s3
	v_add_co_ci_u32_e32 v3, vcc_lo, s4, v3, vcc_lo
	s_delay_alu instid0(VALU_DEP_3)
	v_dual_mov_b32 v4, v8 :: v_dual_mov_b32 v5, v9
	s_cbranch_scc0 .LBB0_8
.LBB0_6:                                ; =>This Inner Loop Header: Depth=1
	s_delay_alu instid0(VALU_DEP_1) | instskip(SKIP_1) | instid1(VALU_DEP_1)
	v_mad_u64_u32 v[8:9], null, 0xe48e2825, v4, 1
	s_mov_b32 s5, exec_lo
	v_mov_b32_e32 v6, v8
	s_delay_alu instid0(VALU_DEP_1)
	v_cmpx_le_u64_e64 s[0:1], v[6:7]
	s_cbranch_execz .LBB0_5
; %bb.7:                                ;   in Loop: Header=BB0_6 Depth=1
	v_cvt_f32_u32_e32 v10, s0
	s_sub_i32 s6, 0, s0
	s_delay_alu instid0(VALU_DEP_1) | instskip(SKIP_2) | instid1(VALU_DEP_1)
	v_rcp_iflag_f32_e32 v10, v10
	s_waitcnt_depctr 0xfff
	v_mul_f32_e32 v10, 0x4f7ffffe, v10
	v_cvt_u32_f32_e32 v10, v10
	s_delay_alu instid0(VALU_DEP_1) | instskip(NEXT) | instid1(VALU_DEP_1)
	v_mul_lo_u32 v11, s6, v10
	v_mul_hi_u32 v11, v10, v11
	s_delay_alu instid0(VALU_DEP_1) | instskip(NEXT) | instid1(VALU_DEP_1)
	v_add_nc_u32_e32 v10, v10, v11
	v_mul_hi_u32 v10, v6, v10
	s_delay_alu instid0(VALU_DEP_1) | instskip(NEXT) | instid1(VALU_DEP_1)
	v_mul_lo_u32 v10, v10, s0
	v_sub_nc_u32_e32 v6, v6, v10
	s_delay_alu instid0(VALU_DEP_1) | instskip(SKIP_1) | instid1(VALU_DEP_2)
	v_subrev_nc_u32_e32 v10, s0, v6
	v_cmp_le_u32_e32 vcc_lo, s0, v6
	v_cndmask_b32_e32 v6, v6, v10, vcc_lo
	s_delay_alu instid0(VALU_DEP_1) | instskip(SKIP_1) | instid1(VALU_DEP_2)
	v_subrev_nc_u32_e32 v10, s0, v6
	v_cmp_le_u32_e32 vcc_lo, s0, v6
	v_cndmask_b32_e32 v6, v6, v10, vcc_lo
	s_branch .LBB0_5
.LBB0_8:
	s_nop 0
	s_sendmsg sendmsg(MSG_DEALLOC_VGPRS)
	s_endpgm
	.section	.rodata,"a",@progbits
	.p2align	6, 0x0
	.amdhsa_kernel _Z16shuffling_kernelPhPKhjj
		.amdhsa_group_segment_fixed_size 0
		.amdhsa_private_segment_fixed_size 0
		.amdhsa_kernarg_size 280
		.amdhsa_user_sgpr_count 15
		.amdhsa_user_sgpr_dispatch_ptr 0
		.amdhsa_user_sgpr_queue_ptr 0
		.amdhsa_user_sgpr_kernarg_segment_ptr 1
		.amdhsa_user_sgpr_dispatch_id 0
		.amdhsa_user_sgpr_private_segment_size 0
		.amdhsa_wavefront_size32 1
		.amdhsa_uses_dynamic_stack 0
		.amdhsa_enable_private_segment 0
		.amdhsa_system_sgpr_workgroup_id_x 1
		.amdhsa_system_sgpr_workgroup_id_y 0
		.amdhsa_system_sgpr_workgroup_id_z 0
		.amdhsa_system_sgpr_workgroup_info 0
		.amdhsa_system_vgpr_workitem_id 0
		.amdhsa_next_free_vgpr 13
		.amdhsa_next_free_sgpr 16
		.amdhsa_reserve_vcc 1
		.amdhsa_float_round_mode_32 0
		.amdhsa_float_round_mode_16_64 0
		.amdhsa_float_denorm_mode_32 3
		.amdhsa_float_denorm_mode_16_64 3
		.amdhsa_dx10_clamp 1
		.amdhsa_ieee_mode 1
		.amdhsa_fp16_overflow 0
		.amdhsa_workgroup_processor_mode 1
		.amdhsa_memory_ordered 1
		.amdhsa_forward_progress 0
		.amdhsa_shared_vgpr_count 0
		.amdhsa_exception_fp_ieee_invalid_op 0
		.amdhsa_exception_fp_denorm_src 0
		.amdhsa_exception_fp_ieee_div_zero 0
		.amdhsa_exception_fp_ieee_overflow 0
		.amdhsa_exception_fp_ieee_underflow 0
		.amdhsa_exception_fp_ieee_inexact 0
		.amdhsa_exception_int_div_zero 0
	.end_amdhsa_kernel
	.text
.Lfunc_end0:
	.size	_Z16shuffling_kernelPhPKhjj, .Lfunc_end0-_Z16shuffling_kernelPhPKhjj
                                        ; -- End function
	.section	.AMDGPU.csdata,"",@progbits
; Kernel info:
; codeLenInByte = 576
; NumSgprs: 18
; NumVgprs: 13
; ScratchSize: 0
; MemoryBound: 0
; FloatMode: 240
; IeeeMode: 1
; LDSByteSize: 0 bytes/workgroup (compile time only)
; SGPRBlocks: 2
; VGPRBlocks: 1
; NumSGPRsForWavesPerEU: 18
; NumVGPRsForWavesPerEU: 13
; Occupancy: 16
; WaveLimiterHint : 0
; COMPUTE_PGM_RSRC2:SCRATCH_EN: 0
; COMPUTE_PGM_RSRC2:USER_SGPR: 15
; COMPUTE_PGM_RSRC2:TRAP_HANDLER: 0
; COMPUTE_PGM_RSRC2:TGID_X_EN: 1
; COMPUTE_PGM_RSRC2:TGID_Y_EN: 0
; COMPUTE_PGM_RSRC2:TGID_Z_EN: 0
; COMPUTE_PGM_RSRC2:TIDIG_COMP_CNT: 0
	.text
	.protected	_Z24statistical_tests_kernelPjPKdddPKhjjjj ; -- Begin function _Z24statistical_tests_kernelPjPKdddPKhjjjj
	.globl	_Z24statistical_tests_kernelPjPKdddPKhjjjj
	.p2align	8
	.type	_Z24statistical_tests_kernelPjPKdddPKhjjjj,@function
_Z24statistical_tests_kernelPjPKdddPKhjjjj: ; @_Z24statistical_tests_kernelPjPKdddPKhjjjj
; %bb.0:
	s_clause 0x1
	s_load_b128 s[16:19], s[0:1], 0x28
	s_load_b32 s12, s[0:1], 0x44
	s_waitcnt lgkmcnt(0)
	v_cvt_f32_u32_e32 v1, s19
	s_sub_i32 s3, 0, s19
	s_delay_alu instid0(VALU_DEP_1) | instskip(SKIP_2) | instid1(VALU_DEP_1)
	v_rcp_iflag_f32_e32 v1, v1
	s_waitcnt_depctr 0xfff
	v_mul_f32_e32 v1, 0x4f7ffffe, v1
	v_cvt_u32_f32_e32 v1, v1
	s_delay_alu instid0(VALU_DEP_1) | instskip(NEXT) | instid1(VALU_DEP_1)
	v_readfirstlane_b32 s2, v1
	s_mul_i32 s3, s3, s2
	s_delay_alu instid0(SALU_CYCLE_1) | instskip(NEXT) | instid1(SALU_CYCLE_1)
	s_mul_hi_u32 s3, s2, s3
	s_add_i32 s2, s2, s3
	s_delay_alu instid0(SALU_CYCLE_1)
	s_mul_hi_u32 s13, s15, s2
	s_load_b64 s[2:3], s[0:1], 0x20
	s_mul_i32 s4, s13, s19
	s_add_i32 s20, s13, 1
	s_sub_i32 s14, s15, s4
	s_load_b256 s[4:11], s[0:1], 0x0
	s_sub_i32 s21, s14, s19
	s_cmp_ge_u32 s14, s19
	s_cselect_b32 s0, s20, s13
	s_cselect_b32 s1, s21, s14
	s_add_i32 s13, s0, 1
	s_cmp_ge_u32 s1, s19
	s_cselect_b32 s1, s13, s0
	s_and_b32 s12, s12, 0xffff
	s_mul_i32 s0, s1, s19
	s_delay_alu instid0(SALU_CYCLE_1)
	s_sub_i32 s0, s15, s0
	s_cmp_ge_u32 s15, s19
	v_mad_u64_u32 v[1:2], null, s0, s12, v[0:1]
	s_mov_b32 s0, 0
	s_cbranch_scc0 .LBB1_5
; %bb.1:
	s_cmp_eq_u32 s1, 1
	s_mov_b32 s20, 0
	s_cbranch_scc0 .LBB1_6
; %bb.2:
	s_cmp_eq_u32 s17, 0
	s_mov_b32 s13, 0
	s_cbranch_scc1 .LBB1_9
; %bb.3:
	v_mov_b32_e32 v4, 0
	v_mov_b32_e32 v5, 0
	s_waitcnt lgkmcnt(0)
	v_add_co_u32 v6, s0, s2, v1
	s_delay_alu instid0(VALU_DEP_1) | instskip(NEXT) | instid1(VALU_DEP_3)
	v_add_co_ci_u32_e64 v7, null, s3, 0, s0
	v_dual_mov_b32 v2, v4 :: v_dual_mov_b32 v3, v5
	s_mov_b32 s12, s17
	s_mov_b64 s[14:15], 0
	.p2align	6
.LBB1_4:                                ; =>This Inner Loop Header: Depth=1
	global_load_u8 v0, v[6:7], off
	s_add_u32 s14, s14, 1
	s_addc_u32 s15, s15, 0
	v_cvt_f64_u32_e32 v[10:11], s14
	v_cvt_f64_u32_e32 v[8:9], s15
	v_add_co_u32 v6, s0, v6, s18
	s_delay_alu instid0(VALU_DEP_1) | instskip(SKIP_1) | instid1(VALU_DEP_3)
	v_add_co_ci_u32_e64 v7, s0, 0, v7, s0
	s_cmp_lg_u64 s[12:13], s[14:15]
	v_ldexp_f64 v[8:9], v[8:9], 32
	s_delay_alu instid0(VALU_DEP_1) | instskip(SKIP_2) | instid1(VALU_DEP_1)
	v_add_f64 v[8:9], v[8:9], v[10:11]
	s_waitcnt vmcnt(0)
	v_cvt_f64_u32_e32 v[12:13], v0
	v_add_f64 v[4:5], v[4:5], v[12:13]
	s_delay_alu instid0(VALU_DEP_1) | instskip(NEXT) | instid1(VALU_DEP_1)
	v_fma_f64 v[8:9], -v[8:9], s[8:9], v[4:5]
	v_cmp_lt_f64_e64 vcc_lo, v[2:3], |v[8:9]|
	v_and_b32_e32 v0, 0x7fffffff, v9
	s_delay_alu instid0(VALU_DEP_1)
	v_cndmask_b32_e32 v3, v3, v0, vcc_lo
	v_cndmask_b32_e32 v2, v2, v8, vcc_lo
	s_cbranch_scc1 .LBB1_4
	s_branch .LBB1_10
.LBB1_5:
	s_mov_b32 s20, -1
.LBB1_6:
                                        ; implicit-def: $vgpr2_vgpr3
	s_delay_alu instid0(SALU_CYCLE_1)
	s_and_b32 vcc_lo, exec_lo, s20
	s_cbranch_vccnz .LBB1_56
.LBB1_7:
	s_and_b32 vcc_lo, exec_lo, s0
	s_cbranch_vccnz .LBB1_74
.LBB1_8:
	s_endpgm
.LBB1_9:
	v_mov_b32_e32 v2, 0
	v_mov_b32_e32 v3, 0
.LBB1_10:
	s_waitcnt lgkmcnt(0)
	s_load_b64 s[0:1], s[6:7], 0x0
	s_delay_alu instid0(VALU_DEP_1) | instskip(SKIP_4) | instid1(VALU_DEP_1)
	v_cvt_f32_f64_e32 v0, v[2:3]
	v_dual_mov_b32 v2, s4 :: v_dual_mov_b32 v3, s5
	s_mov_b32 s8, exec_lo
	s_waitcnt lgkmcnt(0)
	v_cvt_f32_f64_e32 v4, s[0:1]
	v_cmpx_ngt_f32_e32 v0, v4
	s_cbranch_execz .LBB1_16
; %bb.11:
	s_mov_b32 s9, exec_lo
                                        ; implicit-def: $sgpr0_sgpr1
	v_cmpx_neq_f32_e32 v0, v4
	s_xor_b32 s9, exec_lo, s9
; %bb.12:
	s_add_u32 s0, s4, 8
	s_addc_u32 s1, s5, 0
; %bb.13:
	s_or_saveexec_b32 s9, s9
	v_dual_mov_b32 v3, s1 :: v_dual_mov_b32 v2, s0
	s_xor_b32 exec_lo, exec_lo, s9
; %bb.14:
	s_add_u32 s0, s4, 4
	s_addc_u32 s1, s5, 0
	s_delay_alu instid0(SALU_CYCLE_1)
	v_dual_mov_b32 v3, s1 :: v_dual_mov_b32 v2, s0
; %bb.15:
	s_or_b32 exec_lo, exec_lo, s9
.LBB1_16:
	s_delay_alu instid0(SALU_CYCLE_1)
	s_or_b32 exec_lo, exec_lo, s8
	v_mov_b32_e32 v16, 1
	v_mov_b32_e32 v12, 0
	v_dual_mov_b32 v13, 0x3ff00000 :: v_dual_add_nc_u32 v0, s18, v1
	s_mov_b32 s1, 0
	global_atomic_add_u32 v[2:3], v16, off
	s_clause 0x1
	global_load_u8 v4, v1, s[2:3]
	global_load_u8 v5, v0, s[2:3]
	s_waitcnt vmcnt(1)
	v_and_b32_e32 v0, 0xffff, v4
	s_waitcnt vmcnt(0)
	v_cmp_le_u16_e64 s15, v4, v5
	v_mov_b32_e32 v4, 0
	v_mov_b32_e32 v5, 0
	v_cvt_f64_u32_e32 v[2:3], v0
	v_mov_b32_e32 v0, 0
	s_delay_alu instid0(VALU_DEP_2) | instskip(SKIP_1) | instid1(VALU_DEP_1)
	v_cmp_le_f64_e64 s21, s[10:11], v[2:3]
	v_add_co_u32 v2, s0, s2, v1
	v_add_co_ci_u32_e64 v3, null, s3, 0, s0
	s_add_i32 s0, s17, -1
	s_delay_alu instid0(SALU_CYCLE_1)
	s_cmp_lt_u32 s0, 2
	s_cbranch_scc1 .LBB1_32
; %bb.17:
	v_mov_b32_e32 v10, 0
	v_dual_mov_b32 v11, 0x3ff00000 :: v_dual_mov_b32 v8, 0
	v_dual_mov_b32 v9, 0 :: v_dual_mov_b32 v0, 0
	s_delay_alu instid0(VALU_DEP_3) | instskip(NEXT) | instid1(VALU_DEP_3)
	v_dual_mov_b32 v13, v3 :: v_dual_mov_b32 v6, v10
	v_dual_mov_b32 v4, v8 :: v_dual_mov_b32 v17, 1
	s_delay_alu instid0(VALU_DEP_4) | instskip(NEXT) | instid1(VALU_DEP_4)
	v_dual_mov_b32 v12, v2 :: v_dual_mov_b32 v7, v11
	v_mov_b32_e32 v5, v9
	s_mov_b32 s19, s1
	s_add_u32 s8, s0, -1
	s_addc_u32 s9, 0, -1
	s_lshl_b64 s[12:13], s[18:19], 1
.LBB1_18:                               ; =>This Inner Loop Header: Depth=1
	v_dual_mov_b32 v15, v13 :: v_dual_mov_b32 v14, v12
	s_delay_alu instid0(VALU_DEP_1) | instskip(NEXT) | instid1(VALU_DEP_2)
	v_add_co_u32 v12, vcc_lo, v14, s18
	v_add_co_ci_u32_e32 v13, vcc_lo, 0, v15, vcc_lo
	v_add_co_u32 v14, vcc_lo, v14, s12
	v_add_co_ci_u32_e32 v15, vcc_lo, s13, v15, vcc_lo
	s_clause 0x1
	global_load_u8 v18, v[12:13], off
	global_load_u8 v14, v[14:15], off
	s_waitcnt vmcnt(0)
	v_cmp_le_u16_e64 s14, v18, v14
	s_delay_alu instid0(VALU_DEP_1) | instskip(NEXT) | instid1(SALU_CYCLE_1)
	s_xor_b32 s19, s15, s14
	s_xor_b32 s19, s19, -1
	s_delay_alu instid0(SALU_CYCLE_1) | instskip(NEXT) | instid1(SALU_CYCLE_1)
	s_and_saveexec_b32 s22, s19
	s_xor_b32 s19, exec_lo, s22
; %bb.19:                               ;   in Loop: Header=BB1_18 Depth=1
	v_add_nc_u32_e32 v17, 1, v17
; %bb.20:                               ;   in Loop: Header=BB1_18 Depth=1
	s_and_not1_saveexec_b32 s19, s19
	s_cbranch_execz .LBB1_24
; %bb.21:                               ;   in Loop: Header=BB1_18 Depth=1
	s_delay_alu instid0(VALU_DEP_1) | instskip(SKIP_1) | instid1(VALU_DEP_1)
	v_cvt_f64_u32_e32 v[14:15], v17
	s_mov_b32 s22, exec_lo
	v_cmpx_lt_f64_e32 v[8:9], v[14:15]
; %bb.22:                               ;   in Loop: Header=BB1_18 Depth=1
	v_dual_mov_b32 v8, v14 :: v_dual_mov_b32 v9, v15
; %bb.23:                               ;   in Loop: Header=BB1_18 Depth=1
	s_or_b32 exec_lo, exec_lo, s22
	v_add_f64 v[10:11], v[10:11], 1.0
	v_mov_b32_e32 v17, 1
.LBB1_24:                               ;   in Loop: Header=BB1_18 Depth=1
	s_or_b32 exec_lo, exec_lo, s19
	v_and_b32_e32 v14, 0xffff, v18
	s_delay_alu instid0(VALU_DEP_1) | instskip(NEXT) | instid1(VALU_DEP_1)
	v_cvt_f64_u32_e32 v[14:15], v14
	v_cmp_le_f64_e64 s19, s[10:11], v[14:15]
	s_delay_alu instid0(VALU_DEP_1) | instskip(NEXT) | instid1(SALU_CYCLE_1)
	s_xor_b32 s21, s21, s19
	s_xor_b32 s21, s21, -1
	s_delay_alu instid0(SALU_CYCLE_1) | instskip(NEXT) | instid1(SALU_CYCLE_1)
	s_and_saveexec_b32 s22, s21
	s_xor_b32 s21, exec_lo, s22
; %bb.25:                               ;   in Loop: Header=BB1_18 Depth=1
	v_add_nc_u32_e32 v16, 1, v16
; %bb.26:                               ;   in Loop: Header=BB1_18 Depth=1
	s_and_not1_saveexec_b32 s21, s21
	s_cbranch_execz .LBB1_30
; %bb.27:                               ;   in Loop: Header=BB1_18 Depth=1
	s_delay_alu instid0(VALU_DEP_1) | instskip(SKIP_1) | instid1(VALU_DEP_1)
	v_cvt_f64_u32_e32 v[14:15], v16
	s_mov_b32 s22, exec_lo
	v_cmpx_lt_f64_e32 v[4:5], v[14:15]
; %bb.28:                               ;   in Loop: Header=BB1_18 Depth=1
	v_dual_mov_b32 v4, v14 :: v_dual_mov_b32 v5, v15
; %bb.29:                               ;   in Loop: Header=BB1_18 Depth=1
	s_or_b32 exec_lo, exec_lo, s22
	v_add_f64 v[6:7], v[6:7], 1.0
	v_mov_b32_e32 v16, 1
.LBB1_30:                               ;   in Loop: Header=BB1_18 Depth=1
	s_or_b32 exec_lo, exec_lo, s21
	v_cndmask_b32_e64 v14, 0, 1, s15
	s_add_u32 s8, s8, -1
	s_addc_u32 s9, s9, -1
	s_delay_alu instid0(SALU_CYCLE_1) | instskip(NEXT) | instid1(VALU_DEP_1)
	s_cmp_lg_u64 s[8:9], 0
	v_add_nc_u32_e32 v0, v0, v14
	s_cbranch_scc0 .LBB1_33
; %bb.31:                               ;   in Loop: Header=BB1_18 Depth=1
	s_mov_b32 s15, s14
	s_mov_b32 s21, s19
	s_branch .LBB1_18
.LBB1_32:
	v_dual_mov_b32 v6, v12 :: v_dual_mov_b32 v7, v13
	v_dual_mov_b32 v9, v5 :: v_dual_mov_b32 v8, v4
	;; [unrolled: 1-line block ×3, first 2 shown]
	s_mov_b32 s14, s15
	s_mov_b32 s19, s21
	s_branch .LBB1_34
.LBB1_33:
	v_cvt_f64_u32_e32 v[12:13], v16
.LBB1_34:
	v_mad_u64_u32 v[14:15], null, s0, s18, v[1:2]
	global_load_u8 v14, v14, s[2:3]
	s_waitcnt vmcnt(0)
	v_cvt_f64_u32_e32 v[14:15], v14
	s_delay_alu instid0(VALU_DEP_1) | instskip(SKIP_1) | instid1(SALU_CYCLE_1)
	v_cmp_nle_f64_e32 vcc_lo, s[10:11], v[14:15]
	s_xor_b32 s8, s19, vcc_lo
	s_xor_b32 s9, s8, -1
	s_delay_alu instid0(SALU_CYCLE_1)
	s_and_saveexec_b32 s8, s9
	s_cbranch_execz .LBB1_38
; %bb.35:
	s_mov_b32 s9, exec_lo
	v_cmpx_lt_f64_e32 v[4:5], v[12:13]
; %bb.36:
	v_dual_mov_b32 v4, v12 :: v_dual_mov_b32 v5, v13
; %bb.37:
	s_or_b32 exec_lo, exec_lo, s9
	v_add_f64 v[6:7], v[6:7], 1.0
.LBB1_38:
	s_or_b32 exec_lo, exec_lo, s8
	v_mov_b32_e32 v14, 0
	s_cmp_eq_u32 s17, 1
	global_load_b64 v[12:13], v14, s[6:7] offset:8
	s_waitcnt vmcnt(0)
	v_cmp_eq_f64_e32 vcc_lo, v[10:11], v[12:13]
	v_cndmask_b32_e64 v15, 20, 16, vcc_lo
	v_cmp_ngt_f64_e32 vcc_lo, v[10:11], v[12:13]
	v_mov_b32_e32 v12, 1
	s_delay_alu instid0(VALU_DEP_3) | instskip(NEXT) | instid1(VALU_DEP_1)
	v_cndmask_b32_e32 v10, 12, v15, vcc_lo
	v_add_co_u32 v10, s8, s4, v10
	s_delay_alu instid0(VALU_DEP_1)
	v_add_co_ci_u32_e64 v11, null, s5, 0, s8
	global_atomic_add_u32 v[10:11], v12, off
	global_load_b64 v[10:11], v14, s[6:7] offset:16
	s_waitcnt vmcnt(0)
	v_cmp_eq_f64_e32 vcc_lo, v[8:9], v[10:11]
	v_cndmask_b32_e64 v13, 32, 28, vcc_lo
	v_cmp_ngt_f64_e32 vcc_lo, v[8:9], v[10:11]
	v_cndmask_b32_e64 v10, 0, 1, s14
	s_delay_alu instid0(VALU_DEP_1) | instskip(NEXT) | instid1(VALU_DEP_1)
	v_add_nc_u32_e32 v0, v0, v10
	v_sub_nc_u32_e32 v10, s17, v0
	s_delay_alu instid0(VALU_DEP_1) | instskip(NEXT) | instid1(VALU_DEP_1)
	v_max_u32_e32 v0, v0, v10
	v_cvt_f64_u32_e32 v[10:11], v0
	v_cndmask_b32_e32 v8, 24, v13, vcc_lo
	s_delay_alu instid0(VALU_DEP_1) | instskip(NEXT) | instid1(VALU_DEP_1)
	v_add_co_u32 v8, s8, s4, v8
	v_add_co_ci_u32_e64 v9, null, s5, 0, s8
	global_atomic_add_u32 v[8:9], v12, off
	global_load_b64 v[8:9], v14, s[6:7] offset:24
	s_waitcnt vmcnt(0)
	v_cmp_eq_f64_e32 vcc_lo, v[8:9], v[10:11]
	v_cndmask_b32_e64 v0, 44, 40, vcc_lo
	v_cmp_nlt_f64_e32 vcc_lo, v[8:9], v[10:11]
	s_delay_alu instid0(VALU_DEP_2) | instskip(NEXT) | instid1(VALU_DEP_1)
	v_cndmask_b32_e32 v0, 36, v0, vcc_lo
	v_add_co_u32 v8, s8, s4, v0
	s_delay_alu instid0(VALU_DEP_1)
	v_add_co_ci_u32_e64 v9, null, s5, 0, s8
	global_atomic_add_u32 v[8:9], v12, off
	global_load_b64 v[8:9], v14, s[6:7] offset:32
	s_waitcnt vmcnt(0)
	v_cmp_eq_f64_e32 vcc_lo, v[6:7], v[8:9]
	v_cndmask_b32_e64 v0, 56, 52, vcc_lo
	v_cmp_ngt_f64_e32 vcc_lo, v[6:7], v[8:9]
	s_delay_alu instid0(VALU_DEP_2) | instskip(NEXT) | instid1(VALU_DEP_1)
	v_cndmask_b32_e32 v0, 48, v0, vcc_lo
	v_add_co_u32 v6, s8, s4, v0
	s_delay_alu instid0(VALU_DEP_1)
	v_add_co_ci_u32_e64 v7, null, s5, 0, s8
	global_atomic_add_u32 v[6:7], v12, off
	global_load_b64 v[6:7], v14, s[6:7] offset:40
	s_waitcnt vmcnt(0)
	v_cmp_eq_f64_e32 vcc_lo, v[4:5], v[6:7]
	v_cndmask_b32_e64 v0, 0x44, 64, vcc_lo
	v_cmp_ngt_f64_e32 vcc_lo, v[4:5], v[6:7]
	s_delay_alu instid0(VALU_DEP_2) | instskip(NEXT) | instid1(VALU_DEP_1)
	v_cndmask_b32_e32 v0, 60, v0, vcc_lo
	v_add_co_u32 v4, s8, s4, v0
	s_delay_alu instid0(VALU_DEP_1) | instskip(SKIP_3) | instid1(VALU_DEP_1)
	v_add_co_ci_u32_e64 v5, null, s5, 0, s8
	global_atomic_add_u32 v[4:5], v12, off
	v_mov_b32_e32 v4, 0
	v_mov_b32_e32 v5, 0
	v_dual_mov_b32 v7, v5 :: v_dual_mov_b32 v6, v4
	s_cbranch_scc1 .LBB1_41
; %bb.39:
	global_load_u8 v0, v[2:3], off
	v_dual_mov_b32 v4, 0 :: v_dual_mov_b32 v9, v3
	v_dual_mov_b32 v5, 0 :: v_dual_mov_b32 v8, v2
	s_delay_alu instid0(VALU_DEP_1)
	v_dual_mov_b32 v7, v5 :: v_dual_mov_b32 v6, v4
	.p2align	6
.LBB1_40:                               ; =>This Inner Loop Header: Depth=1
	s_delay_alu instid0(VALU_DEP_2) | instskip(NEXT) | instid1(VALU_DEP_4)
	v_add_co_u32 v8, vcc_lo, v8, s18
	v_add_co_ci_u32_e32 v9, vcc_lo, 0, v9, vcc_lo
	s_delay_alu instid0(VALU_DEP_3)
	v_add_f64 v[12:13], v[6:7], 1.0
	s_waitcnt vmcnt(0)
	v_and_b32_e32 v0, 0xff, v0
	s_add_u32 s0, s0, -1
	global_load_u8 v14, v[8:9], off
	s_addc_u32 s1, s1, -1
	s_delay_alu instid0(SALU_CYCLE_1) | instskip(SKIP_4) | instid1(VALU_DEP_3)
	s_cmp_lg_u64 s[0:1], 0
	s_waitcnt vmcnt(0)
	v_and_b32_e32 v10, 0xffff, v14
	v_cmp_eq_u16_e32 vcc_lo, v0, v14
	v_cndmask_b32_e32 v7, v7, v13, vcc_lo
	v_mul_u32_u24_e32 v10, v10, v0
	v_mov_b32_e32 v0, v14
	v_cndmask_b32_e32 v6, v6, v12, vcc_lo
	s_delay_alu instid0(VALU_DEP_3) | instskip(NEXT) | instid1(VALU_DEP_1)
	v_cvt_f64_u32_e32 v[10:11], v10
	v_add_f64 v[4:5], v[4:5], v[10:11]
	s_cbranch_scc1 .LBB1_40
.LBB1_41:
	v_mov_b32_e32 v0, 0
	v_mov_b32_e32 v10, 0x64
	s_cmp_eq_u32 s17, 2
	s_mov_b32 s19, 0
	global_load_b64 v[8:9], v0, s[6:7] offset:64
	s_waitcnt vmcnt(0)
	v_cmp_eq_f64_e32 vcc_lo, v[6:7], v[8:9]
	v_cndmask_b32_e32 v10, 0x68, v10, vcc_lo
	v_cmp_ngt_f64_e32 vcc_lo, v[6:7], v[8:9]
	v_mov_b32_e32 v8, 1
	s_delay_alu instid0(VALU_DEP_3) | instskip(NEXT) | instid1(VALU_DEP_1)
	v_cndmask_b32_e32 v6, 0x60, v10, vcc_lo
	v_add_co_u32 v6, s0, s4, v6
	s_delay_alu instid0(VALU_DEP_1)
	v_add_co_ci_u32_e64 v7, null, s5, 0, s0
	global_atomic_add_u32 v[6:7], v8, off
	global_load_b64 v[6:7], v0, s[6:7] offset:104
	v_mov_b32_e32 v0, 0xa0
	s_waitcnt vmcnt(0)
	v_cmp_eq_f64_e32 vcc_lo, v[4:5], v[6:7]
	s_delay_alu instid0(VALU_DEP_2) | instskip(SKIP_1) | instid1(VALU_DEP_2)
	v_cndmask_b32_e32 v0, 0xa4, v0, vcc_lo
	v_cmp_ngt_f64_e32 vcc_lo, v[4:5], v[6:7]
	v_cndmask_b32_e32 v0, 0x9c, v0, vcc_lo
	s_delay_alu instid0(VALU_DEP_1) | instskip(NEXT) | instid1(VALU_DEP_1)
	v_add_co_u32 v4, s0, s4, v0
	v_add_co_ci_u32_e64 v5, null, s5, 0, s0
	global_atomic_add_u32 v[4:5], v8, off
	v_mov_b32_e32 v4, 0
	v_mov_b32_e32 v5, 0
	s_delay_alu instid0(VALU_DEP_1)
	v_dual_mov_b32 v7, v5 :: v_dual_mov_b32 v6, v4
	s_cbranch_scc1 .LBB1_44
; %bb.42:
	v_dual_mov_b32 v4, 0 :: v_dual_mov_b32 v9, v3
	v_dual_mov_b32 v5, 0 :: v_dual_mov_b32 v8, v2
	s_add_i32 s8, s17, -2
	s_mov_b32 s9, s19
	s_lshl_b64 s[10:11], s[18:19], 1
	s_delay_alu instid0(VALU_DEP_1)
	v_dual_mov_b32 v7, v5 :: v_dual_mov_b32 v6, v4
	.p2align	6
.LBB1_43:                               ; =>This Inner Loop Header: Depth=1
	v_add_co_u32 v10, vcc_lo, v8, s10
	v_add_co_ci_u32_e32 v11, vcc_lo, s11, v9, vcc_lo
	s_delay_alu instid0(VALU_DEP_3)
	v_add_f64 v[12:13], v[6:7], 1.0
	s_add_u32 s8, s8, -1
	s_clause 0x1
	global_load_u8 v0, v[8:9], off
	global_load_u8 v14, v[10:11], off
	v_add_co_u32 v8, s0, v8, s18
	s_delay_alu instid0(VALU_DEP_1) | instskip(SKIP_1) | instid1(SALU_CYCLE_1)
	v_add_co_ci_u32_e64 v9, s0, 0, v9, s0
	s_addc_u32 s9, s9, -1
	s_cmp_lg_u64 s[8:9], 0
	s_waitcnt vmcnt(0)
	v_cmp_eq_u16_e32 vcc_lo, v0, v14
	v_and_b32_e32 v10, 0xffff, v0
	v_dual_cndmask_b32 v6, v6, v12 :: v_dual_and_b32 v11, 0xffff, v14
	v_cndmask_b32_e32 v7, v7, v13, vcc_lo
	s_delay_alu instid0(VALU_DEP_2) | instskip(NEXT) | instid1(VALU_DEP_1)
	v_mul_u32_u24_e32 v10, v11, v10
	v_cvt_f64_u32_e32 v[10:11], v10
	s_delay_alu instid0(VALU_DEP_1)
	v_add_f64 v[4:5], v[4:5], v[10:11]
	s_cbranch_scc1 .LBB1_43
.LBB1_44:
	v_mov_b32_e32 v0, 0
	v_mov_b32_e32 v10, 0x70
	s_cmp_eq_u32 s17, 8
	s_mov_b32 s19, 0
	global_load_b64 v[8:9], v0, s[6:7] offset:72
	s_waitcnt vmcnt(0)
	v_cmp_eq_f64_e32 vcc_lo, v[6:7], v[8:9]
	v_cndmask_b32_e32 v10, 0x74, v10, vcc_lo
	v_cmp_ngt_f64_e32 vcc_lo, v[6:7], v[8:9]
	v_mov_b32_e32 v8, 1
	s_delay_alu instid0(VALU_DEP_3) | instskip(NEXT) | instid1(VALU_DEP_1)
	v_cndmask_b32_e32 v6, 0x6c, v10, vcc_lo
	v_add_co_u32 v6, s0, s4, v6
	s_delay_alu instid0(VALU_DEP_1)
	v_add_co_ci_u32_e64 v7, null, s5, 0, s0
	global_atomic_add_u32 v[6:7], v8, off
	global_load_b64 v[6:7], v0, s[6:7] offset:112
	v_mov_b32_e32 v0, 0xac
	s_waitcnt vmcnt(0)
	v_cmp_eq_f64_e32 vcc_lo, v[4:5], v[6:7]
	s_delay_alu instid0(VALU_DEP_2) | instskip(SKIP_1) | instid1(VALU_DEP_2)
	v_cndmask_b32_e32 v0, 0xb0, v0, vcc_lo
	v_cmp_ngt_f64_e32 vcc_lo, v[4:5], v[6:7]
	v_cndmask_b32_e32 v0, 0xa8, v0, vcc_lo
	s_delay_alu instid0(VALU_DEP_1) | instskip(NEXT) | instid1(VALU_DEP_1)
	v_add_co_u32 v4, s0, s4, v0
	v_add_co_ci_u32_e64 v5, null, s5, 0, s0
	global_atomic_add_u32 v[4:5], v8, off
	v_mov_b32_e32 v4, 0
	v_mov_b32_e32 v5, 0
	s_delay_alu instid0(VALU_DEP_1)
	v_dual_mov_b32 v7, v5 :: v_dual_mov_b32 v6, v4
	s_cbranch_scc1 .LBB1_47
; %bb.45:
	v_dual_mov_b32 v4, 0 :: v_dual_mov_b32 v9, v3
	v_dual_mov_b32 v5, 0 :: v_dual_mov_b32 v8, v2
	s_add_i32 s8, s17, -8
	s_mov_b32 s9, s19
	s_lshl_b64 s[10:11], s[18:19], 3
	s_delay_alu instid0(VALU_DEP_1)
	v_dual_mov_b32 v7, v5 :: v_dual_mov_b32 v6, v4
	.p2align	6
.LBB1_46:                               ; =>This Inner Loop Header: Depth=1
	v_add_co_u32 v10, vcc_lo, v8, s10
	v_add_co_ci_u32_e32 v11, vcc_lo, s11, v9, vcc_lo
	s_delay_alu instid0(VALU_DEP_3)
	v_add_f64 v[12:13], v[6:7], 1.0
	s_add_u32 s8, s8, -1
	s_clause 0x1
	global_load_u8 v0, v[8:9], off
	global_load_u8 v14, v[10:11], off
	v_add_co_u32 v8, s0, v8, s18
	s_delay_alu instid0(VALU_DEP_1) | instskip(SKIP_1) | instid1(SALU_CYCLE_1)
	v_add_co_ci_u32_e64 v9, s0, 0, v9, s0
	s_addc_u32 s9, s9, -1
	s_cmp_lg_u64 s[8:9], 0
	s_waitcnt vmcnt(0)
	v_cmp_eq_u16_e32 vcc_lo, v0, v14
	v_and_b32_e32 v10, 0xffff, v0
	v_dual_cndmask_b32 v6, v6, v12 :: v_dual_and_b32 v11, 0xffff, v14
	v_cndmask_b32_e32 v7, v7, v13, vcc_lo
	s_delay_alu instid0(VALU_DEP_2) | instskip(NEXT) | instid1(VALU_DEP_1)
	v_mul_u32_u24_e32 v10, v11, v10
	v_cvt_f64_u32_e32 v[10:11], v10
	s_delay_alu instid0(VALU_DEP_1)
	v_add_f64 v[4:5], v[4:5], v[10:11]
	s_cbranch_scc1 .LBB1_46
.LBB1_47:
	v_mov_b32_e32 v0, 0
	v_mov_b32_e32 v10, 0x7c
	s_cmp_eq_u32 s17, 16
	s_mov_b32 s19, 0
	global_load_b64 v[8:9], v0, s[6:7] offset:80
	s_waitcnt vmcnt(0)
	v_cmp_eq_f64_e32 vcc_lo, v[6:7], v[8:9]
	v_cndmask_b32_e32 v10, 0x80, v10, vcc_lo
	v_cmp_ngt_f64_e32 vcc_lo, v[6:7], v[8:9]
	v_mov_b32_e32 v8, 1
	s_delay_alu instid0(VALU_DEP_3) | instskip(NEXT) | instid1(VALU_DEP_1)
	v_cndmask_b32_e32 v6, 0x78, v10, vcc_lo
	v_add_co_u32 v6, s0, s4, v6
	s_delay_alu instid0(VALU_DEP_1)
	v_add_co_ci_u32_e64 v7, null, s5, 0, s0
	global_atomic_add_u32 v[6:7], v8, off
	global_load_b64 v[6:7], v0, s[6:7] offset:120
	v_mov_b32_e32 v0, 0xb8
	s_waitcnt vmcnt(0)
	v_cmp_eq_f64_e32 vcc_lo, v[4:5], v[6:7]
	s_delay_alu instid0(VALU_DEP_2) | instskip(SKIP_1) | instid1(VALU_DEP_2)
	v_cndmask_b32_e32 v0, 0xbc, v0, vcc_lo
	v_cmp_ngt_f64_e32 vcc_lo, v[4:5], v[6:7]
	v_cndmask_b32_e32 v0, 0xb4, v0, vcc_lo
	s_delay_alu instid0(VALU_DEP_1) | instskip(NEXT) | instid1(VALU_DEP_1)
	v_add_co_u32 v4, s0, s4, v0
	v_add_co_ci_u32_e64 v5, null, s5, 0, s0
	global_atomic_add_u32 v[4:5], v8, off
	v_mov_b32_e32 v4, 0
	v_mov_b32_e32 v5, 0
	s_delay_alu instid0(VALU_DEP_1)
	v_dual_mov_b32 v7, v5 :: v_dual_mov_b32 v6, v4
	s_cbranch_scc1 .LBB1_50
; %bb.48:
	v_dual_mov_b32 v4, 0 :: v_dual_mov_b32 v9, v3
	v_dual_mov_b32 v5, 0 :: v_dual_mov_b32 v8, v2
	s_add_i32 s8, s17, -16
	s_mov_b32 s9, s19
	s_lshl_b64 s[10:11], s[18:19], 4
	s_delay_alu instid0(VALU_DEP_1)
	v_dual_mov_b32 v7, v5 :: v_dual_mov_b32 v6, v4
	.p2align	6
.LBB1_49:                               ; =>This Inner Loop Header: Depth=1
	v_add_co_u32 v10, vcc_lo, v8, s10
	v_add_co_ci_u32_e32 v11, vcc_lo, s11, v9, vcc_lo
	s_delay_alu instid0(VALU_DEP_3)
	v_add_f64 v[12:13], v[6:7], 1.0
	s_add_u32 s8, s8, -1
	s_clause 0x1
	global_load_u8 v0, v[8:9], off
	global_load_u8 v14, v[10:11], off
	v_add_co_u32 v8, s0, v8, s18
	s_delay_alu instid0(VALU_DEP_1) | instskip(SKIP_1) | instid1(SALU_CYCLE_1)
	v_add_co_ci_u32_e64 v9, s0, 0, v9, s0
	s_addc_u32 s9, s9, -1
	s_cmp_lg_u64 s[8:9], 0
	s_waitcnt vmcnt(0)
	v_cmp_eq_u16_e32 vcc_lo, v0, v14
	v_and_b32_e32 v10, 0xffff, v0
	v_dual_cndmask_b32 v6, v6, v12 :: v_dual_and_b32 v11, 0xffff, v14
	v_cndmask_b32_e32 v7, v7, v13, vcc_lo
	s_delay_alu instid0(VALU_DEP_2) | instskip(NEXT) | instid1(VALU_DEP_1)
	v_mul_u32_u24_e32 v10, v11, v10
	v_cvt_f64_u32_e32 v[10:11], v10
	s_delay_alu instid0(VALU_DEP_1)
	v_add_f64 v[4:5], v[4:5], v[10:11]
	s_cbranch_scc1 .LBB1_49
.LBB1_50:
	v_mov_b32_e32 v0, 0
	v_mov_b32_e32 v10, 0x88
	s_cmp_eq_u32 s17, 32
	s_mov_b32 s19, 0
	global_load_b64 v[8:9], v0, s[6:7] offset:88
	s_waitcnt vmcnt(0)
	v_cmp_eq_f64_e32 vcc_lo, v[6:7], v[8:9]
	v_cndmask_b32_e32 v10, 0x8c, v10, vcc_lo
	v_cmp_ngt_f64_e32 vcc_lo, v[6:7], v[8:9]
	v_mov_b32_e32 v8, 1
	s_delay_alu instid0(VALU_DEP_3) | instskip(NEXT) | instid1(VALU_DEP_1)
	v_cndmask_b32_e32 v6, 0x84, v10, vcc_lo
	v_add_co_u32 v6, s0, s4, v6
	s_delay_alu instid0(VALU_DEP_1)
	v_add_co_ci_u32_e64 v7, null, s5, 0, s0
	global_atomic_add_u32 v[6:7], v8, off
	global_load_b64 v[6:7], v0, s[6:7] offset:128
	v_mov_b32_e32 v0, 0xc4
	s_waitcnt vmcnt(0)
	v_cmp_eq_f64_e32 vcc_lo, v[4:5], v[6:7]
	s_delay_alu instid0(VALU_DEP_2) | instskip(SKIP_1) | instid1(VALU_DEP_2)
	v_cndmask_b32_e32 v0, 0xc8, v0, vcc_lo
	v_cmp_ngt_f64_e32 vcc_lo, v[4:5], v[6:7]
	v_cndmask_b32_e32 v0, 0xc0, v0, vcc_lo
	s_delay_alu instid0(VALU_DEP_1) | instskip(NEXT) | instid1(VALU_DEP_1)
	v_add_co_u32 v4, s0, s4, v0
	v_add_co_ci_u32_e64 v5, null, s5, 0, s0
	global_atomic_add_u32 v[4:5], v8, off
	v_mov_b32_e32 v4, 0
	v_mov_b32_e32 v5, 0
	s_delay_alu instid0(VALU_DEP_1)
	v_dual_mov_b32 v7, v5 :: v_dual_mov_b32 v6, v4
	s_cbranch_scc1 .LBB1_53
; %bb.51:
	v_mov_b32_e32 v4, 0
	v_mov_b32_e32 v5, 0
	s_sub_i32 s8, s17, 32
	s_mov_b32 s9, s19
	s_lshl_b64 s[10:11], s[18:19], 5
	s_delay_alu instid0(VALU_DEP_1)
	v_dual_mov_b32 v7, v5 :: v_dual_mov_b32 v6, v4
	.p2align	6
.LBB1_52:                               ; =>This Inner Loop Header: Depth=1
	v_add_co_u32 v8, vcc_lo, v2, s10
	v_add_co_ci_u32_e32 v9, vcc_lo, s11, v3, vcc_lo
	s_delay_alu instid0(VALU_DEP_3)
	v_add_f64 v[10:11], v[6:7], 1.0
	s_add_u32 s8, s8, -1
	s_clause 0x1
	global_load_u8 v0, v[2:3], off
	global_load_u8 v12, v[8:9], off
	v_add_co_u32 v2, s0, v2, s18
	s_delay_alu instid0(VALU_DEP_1) | instskip(SKIP_1) | instid1(SALU_CYCLE_1)
	v_add_co_ci_u32_e64 v3, s0, 0, v3, s0
	s_addc_u32 s9, s9, -1
	s_cmp_lg_u64 s[8:9], 0
	s_waitcnt vmcnt(0)
	v_cmp_eq_u16_e32 vcc_lo, v0, v12
	v_and_b32_e32 v8, 0xffff, v0
	v_dual_cndmask_b32 v6, v6, v10 :: v_dual_and_b32 v9, 0xffff, v12
	v_cndmask_b32_e32 v7, v7, v11, vcc_lo
	s_delay_alu instid0(VALU_DEP_2) | instskip(NEXT) | instid1(VALU_DEP_1)
	v_mul_u32_u24_e32 v8, v9, v8
	v_cvt_f64_u32_e32 v[8:9], v8
	s_delay_alu instid0(VALU_DEP_1)
	v_add_f64 v[4:5], v[4:5], v[8:9]
	s_cbranch_scc1 .LBB1_52
.LBB1_53:
	v_mov_b32_e32 v8, 0
	v_mov_b32_e32 v0, 0x94
	global_load_b64 v[2:3], v8, s[6:7] offset:96
	s_waitcnt vmcnt(0)
	v_cmp_eq_f64_e32 vcc_lo, v[6:7], v[2:3]
	v_cndmask_b32_e32 v0, 0x98, v0, vcc_lo
	v_cmp_ngt_f64_e32 vcc_lo, v[6:7], v[2:3]
	s_delay_alu instid0(VALU_DEP_2) | instskip(NEXT) | instid1(VALU_DEP_1)
	v_cndmask_b32_e32 v0, 0x90, v0, vcc_lo
	v_add_co_u32 v2, s0, s4, v0
	s_delay_alu instid0(VALU_DEP_1)
	v_add_co_ci_u32_e64 v3, null, s5, 0, s0
	v_mov_b32_e32 v0, 1
	s_mov_b32 s0, exec_lo
	global_atomic_add_u32 v[2:3], v0, off
	v_mov_b32_e32 v2, 0xcc
	v_mov_b32_e32 v3, 0
	global_load_b64 v[6:7], v8, s[6:7] offset:136
	s_waitcnt vmcnt(0)
	v_cmpx_ngt_f64_e32 v[4:5], v[6:7]
; %bb.54:
	v_cmp_eq_f64_e32 vcc_lo, v[4:5], v[6:7]
	v_mov_b32_e32 v0, 0xd0
	s_delay_alu instid0(VALU_DEP_1) | instskip(NEXT) | instid1(VALU_DEP_1)
	v_cndmask_b32_e32 v7, 0xd4, v0, vcc_lo
	v_dual_mov_b32 v2, v7 :: v_dual_mov_b32 v3, v8
; %bb.55:
	s_or_b32 exec_lo, exec_lo, s0
	s_mov_b32 s0, -1
	s_and_b32 vcc_lo, exec_lo, s20
	s_cbranch_vccz .LBB1_7
.LBB1_56:
	s_waitcnt lgkmcnt(0)
	s_mov_b32 s9, 0
	s_cmp_eq_u32 s17, 0
	s_mov_b32 s8, s9
	s_mov_b32 s10, s9
	;; [unrolled: 1-line block ×3, first 2 shown]
	v_dual_mov_b32 v2, s8 :: v_dual_mov_b32 v3, s9
	v_dual_mov_b32 v4, s10 :: v_dual_mov_b32 v5, s11
	s_clause 0xf
	scratch_store_b128 off, v[2:5], off offset:240
	scratch_store_b128 off, v[2:5], off offset:224
	;; [unrolled: 1-line block ×15, first 2 shown]
	scratch_store_b128 off, v[2:5], off
	s_cbranch_scc1 .LBB1_70
; %bb.57:
	v_dual_mov_b32 v2, 0 :: v_dual_mov_b32 v9, 0
	v_dual_mov_b32 v10, 0 :: v_dual_mov_b32 v3, 0
	v_add_co_u32 v5, s0, s2, v1
	s_delay_alu instid0(VALU_DEP_1) | instskip(NEXT) | instid1(VALU_DEP_4)
	v_add_co_ci_u32_e64 v6, null, s3, 0, s0
	v_dual_mov_b32 v4, 0 :: v_dual_mov_b32 v1, v2
	v_dual_mov_b32 v0, 1 :: v_dual_mov_b32 v15, v2
	v_dual_mov_b32 v7, v9 :: v_dual_mov_b32 v8, v10
	s_mov_b32 s8, s17
	s_lshl_b32 s2, 1, s16
	s_mov_b32 s3, s9
	s_mov_b32 s10, s9
	s_branch .LBB1_60
.LBB1_58:                               ;   in Loop: Header=BB1_60 Depth=1
	s_or_b32 exec_lo, exec_lo, s0
.LBB1_59:                               ;   in Loop: Header=BB1_60 Depth=1
	s_delay_alu instid0(SALU_CYCLE_1) | instskip(SKIP_2) | instid1(VALU_DEP_2)
	s_or_b32 exec_lo, exec_lo, s1
	v_add_co_u32 v7, vcc_lo, v7, 1
	v_add_co_ci_u32_e32 v8, vcc_lo, 0, v8, vcc_lo
	v_add_co_u32 v11, vcc_lo, v9, v7
	s_delay_alu instid0(VALU_DEP_2) | instskip(NEXT) | instid1(VALU_DEP_1)
	v_add_co_ci_u32_e32 v12, vcc_lo, v10, v8, vcc_lo
	v_cmp_le_u64_e32 vcc_lo, s[8:9], v[11:12]
	s_or_b32 s10, vcc_lo, s10
	s_delay_alu instid0(SALU_CYCLE_1)
	s_and_not1_b32 exec_lo, exec_lo, s10
	s_cbranch_execz .LBB1_69
.LBB1_60:                               ; =>This Loop Header: Depth=1
                                        ;     Child Loop BB1_61 Depth 2
                                        ;     Child Loop BB1_65 Depth 2
	v_mov_b32_e32 v11, 0
	s_mov_b64 s[0:1], s[2:3]
.LBB1_61:                               ;   Parent Loop BB1_60 Depth=1
                                        ; =>  This Inner Loop Header: Depth=2
	scratch_store_b8 v11, v2, off
	s_add_u32 s0, s0, -1
	v_add_nc_u32_e32 v11, 1, v11
	s_addc_u32 s1, s1, -1
	s_delay_alu instid0(SALU_CYCLE_1)
	s_cmp_eq_u64 s[0:1], 0
	s_cbranch_scc0 .LBB1_61
; %bb.62:                               ;   in Loop: Header=BB1_60 Depth=1
	v_add_co_u32 v11, vcc_lo, v7, v9
	v_add_co_ci_u32_e32 v12, vcc_lo, v8, v10, vcc_lo
	s_mov_b32 s1, exec_lo
	s_delay_alu instid0(VALU_DEP_1)
	v_cmpx_gt_u64_e64 s[8:9], v[11:12]
	s_cbranch_execz .LBB1_59
; %bb.63:                               ;   in Loop: Header=BB1_60 Depth=1
	v_mad_u64_u32 v[13:14], null, s18, v11, v[5:6]
	s_mov_b32 s12, 0
                                        ; implicit-def: $sgpr11
                                        ; implicit-def: $sgpr14
                                        ; implicit-def: $sgpr13
	s_delay_alu instid0(VALU_DEP_1) | instskip(NEXT) | instid1(VALU_DEP_1)
	v_mov_b32_e32 v11, v14
	v_mad_u64_u32 v[16:17], null, s18, v12, v[11:12]
	s_delay_alu instid0(VALU_DEP_1)
	v_mov_b32_e32 v14, v16
	s_set_inst_prefetch_distance 0x1
	s_branch .LBB1_65
	.p2align	6
.LBB1_64:                               ;   in Loop: Header=BB1_65 Depth=2
	s_or_b32 exec_lo, exec_lo, s15
	s_delay_alu instid0(SALU_CYCLE_1) | instskip(NEXT) | instid1(SALU_CYCLE_1)
	s_and_b32 s0, exec_lo, s14
	s_or_b32 s12, s0, s12
	s_and_not1_b32 s0, s11, exec_lo
	s_and_b32 s11, s13, exec_lo
	s_delay_alu instid0(SALU_CYCLE_1)
	s_or_b32 s11, s0, s11
	s_and_not1_b32 exec_lo, exec_lo, s12
	s_cbranch_execz .LBB1_67
.LBB1_65:                               ;   Parent Loop BB1_60 Depth=1
                                        ; =>  This Inner Loop Header: Depth=2
	global_load_u8 v16, v[13:14], off
	s_or_b32 s13, s13, exec_lo
	s_or_b32 s14, s14, exec_lo
	s_waitcnt vmcnt(0)
	scratch_load_u8 v11, v16, off
	s_waitcnt vmcnt(0)
	v_and_b32_e32 v11, 1, v11
	s_delay_alu instid0(VALU_DEP_1) | instskip(SKIP_2) | instid1(SALU_CYCLE_1)
	v_cmp_eq_u32_e32 vcc_lo, 1, v11
	v_dual_mov_b32 v12, v10 :: v_dual_mov_b32 v11, v9
                                        ; implicit-def: $vgpr9_vgpr10
	s_xor_b32 s0, vcc_lo, -1
	s_and_saveexec_b32 s15, s0
	s_cbranch_execz .LBB1_64
; %bb.66:                               ;   in Loop: Header=BB1_65 Depth=2
	s_delay_alu instid0(VALU_DEP_1) | instskip(SKIP_2) | instid1(VALU_DEP_3)
	v_add_co_u32 v9, vcc_lo, v11, 1
	v_add_co_ci_u32_e32 v10, vcc_lo, 0, v12, vcc_lo
	v_add_co_u32 v13, s0, v13, s18
	v_add_co_u32 v17, vcc_lo, v7, v9
	s_delay_alu instid0(VALU_DEP_3) | instskip(SKIP_2) | instid1(VALU_DEP_3)
	v_add_co_ci_u32_e32 v18, vcc_lo, v8, v10, vcc_lo
	v_add_nc_u32_e32 v16, 0, v16
	v_add_co_ci_u32_e64 v14, s0, 0, v14, s0
	v_cmp_le_u64_e32 vcc_lo, s[8:9], v[17:18]
	s_and_not1_b32 s0, s14, exec_lo
	s_and_not1_b32 s13, s13, exec_lo
	scratch_store_b8 v16, v0, off
	s_and_b32 s14, vcc_lo, exec_lo
	s_delay_alu instid0(SALU_CYCLE_1)
	s_or_b32 s14, s0, s14
	s_branch .LBB1_64
.LBB1_67:                               ;   in Loop: Header=BB1_60 Depth=1
	s_set_inst_prefetch_distance 0x2
	s_or_b32 exec_lo, exec_lo, s12
	s_and_saveexec_b32 s0, s11
	s_delay_alu instid0(SALU_CYCLE_1)
	s_xor_b32 s0, exec_lo, s0
	s_cbranch_execz .LBB1_58
; %bb.68:                               ;   in Loop: Header=BB1_60 Depth=1
	v_cvt_f64_u32_e32 v[9:10], v12
	v_cvt_f64_u32_e32 v[13:14], v11
	v_add_co_u32 v7, vcc_lo, v7, v11
	v_add_co_ci_u32_e32 v8, vcc_lo, v8, v12, vcc_lo
	v_cmp_gt_u64_e32 vcc_lo, v[11:12], v[1:2]
	v_add_nc_u32_e32 v15, 1, v15
	v_cndmask_b32_e32 v1, v1, v11, vcc_lo
	v_ldexp_f64 v[9:10], v[9:10], 32
	s_delay_alu instid0(VALU_DEP_1) | instskip(NEXT) | instid1(VALU_DEP_1)
	v_add_f64 v[9:10], v[9:10], v[13:14]
	v_add_f64 v[3:4], v[3:4], v[9:10]
	v_mov_b32_e32 v9, 0
	v_mov_b32_e32 v10, 0
	s_branch .LBB1_58
.LBB1_69:
	s_or_b32 exec_lo, exec_lo, s10
	v_cvt_f64_u32_e32 v[5:6], v15
	v_cvt_f64_u32_e32 v[0:1], v1
	s_delay_alu instid0(VALU_DEP_2) | instskip(SKIP_1) | instid1(VALU_DEP_2)
	v_div_scale_f64 v[7:8], null, v[5:6], v[5:6], v[3:4]
	v_div_scale_f64 v[13:14], vcc_lo, v[3:4], v[5:6], v[3:4]
	v_rcp_f64_e32 v[9:10], v[7:8]
	s_waitcnt_depctr 0xfff
	v_fma_f64 v[11:12], -v[7:8], v[9:10], 1.0
	s_delay_alu instid0(VALU_DEP_1) | instskip(NEXT) | instid1(VALU_DEP_1)
	v_fma_f64 v[9:10], v[9:10], v[11:12], v[9:10]
	v_fma_f64 v[11:12], -v[7:8], v[9:10], 1.0
	s_delay_alu instid0(VALU_DEP_1) | instskip(NEXT) | instid1(VALU_DEP_1)
	v_fma_f64 v[9:10], v[9:10], v[11:12], v[9:10]
	v_mul_f64 v[11:12], v[13:14], v[9:10]
	s_delay_alu instid0(VALU_DEP_1) | instskip(NEXT) | instid1(VALU_DEP_1)
	v_fma_f64 v[7:8], -v[7:8], v[11:12], v[13:14]
	v_div_fmas_f64 v[7:8], v[7:8], v[9:10], v[11:12]
	s_delay_alu instid0(VALU_DEP_1)
	v_div_fixup_f64 v[2:3], v[7:8], v[5:6], v[3:4]
	s_branch .LBB1_71
.LBB1_70:
	v_mov_b32_e32 v2, 0
	v_dual_mov_b32 v3, 0x7ff80000 :: v_dual_mov_b32 v0, 0
	v_mov_b32_e32 v1, 0
.LBB1_71:
	s_load_b64 s[0:1], s[6:7], 0x30
	v_dual_mov_b32 v4, 0x4c :: v_dual_mov_b32 v5, 1
	s_waitcnt lgkmcnt(0)
	s_delay_alu instid0(VALU_DEP_2) | instskip(NEXT) | instid1(VALU_DEP_2)
	v_cmp_eq_f64_e32 vcc_lo, s[0:1], v[2:3]
	v_cndmask_b32_e32 v4, 0x50, v4, vcc_lo
	v_cmp_nlt_f64_e32 vcc_lo, s[0:1], v[2:3]
	s_delay_alu instid0(VALU_DEP_2) | instskip(SKIP_1) | instid1(VALU_DEP_2)
	v_cndmask_b32_e32 v2, 0x48, v4, vcc_lo
	v_mov_b32_e32 v4, 0
	v_add_co_u32 v2, s0, s4, v2
	s_delay_alu instid0(VALU_DEP_1)
	v_add_co_ci_u32_e64 v3, null, s5, 0, s0
	s_mov_b32 s0, exec_lo
	global_atomic_add_u32 v[2:3], v5, off
	global_load_b64 v[5:6], v4, s[6:7] offset:56
	v_mov_b32_e32 v2, 0x54
	v_mov_b32_e32 v3, 0
	s_waitcnt vmcnt(0)
	v_cmpx_ngt_f64_e32 v[0:1], v[5:6]
; %bb.72:
	v_cmp_eq_f64_e32 vcc_lo, v[0:1], v[5:6]
	v_mov_b32_e32 v2, 0x58
	s_delay_alu instid0(VALU_DEP_1) | instskip(NEXT) | instid1(VALU_DEP_1)
	v_cndmask_b32_e32 v3, 0x5c, v2, vcc_lo
	v_mov_b32_e32 v2, v3
	v_mov_b32_e32 v3, v4
; %bb.73:
	s_or_b32 exec_lo, exec_lo, s0
	s_cbranch_execz .LBB1_8
.LBB1_74:
	s_waitcnt lgkmcnt(0)
	v_add_co_u32 v0, vcc_lo, s4, v2
	v_add_co_ci_u32_e32 v1, vcc_lo, s5, v3, vcc_lo
	v_mov_b32_e32 v2, 1
	global_atomic_add_u32 v[0:1], v2, off
	s_endpgm
	.section	.rodata,"a",@progbits
	.p2align	6, 0x0
	.amdhsa_kernel _Z24statistical_tests_kernelPjPKdddPKhjjjj
		.amdhsa_group_segment_fixed_size 0
		.amdhsa_private_segment_fixed_size 272
		.amdhsa_kernarg_size 312
		.amdhsa_user_sgpr_count 15
		.amdhsa_user_sgpr_dispatch_ptr 0
		.amdhsa_user_sgpr_queue_ptr 0
		.amdhsa_user_sgpr_kernarg_segment_ptr 1
		.amdhsa_user_sgpr_dispatch_id 0
		.amdhsa_user_sgpr_private_segment_size 0
		.amdhsa_wavefront_size32 1
		.amdhsa_uses_dynamic_stack 0
		.amdhsa_enable_private_segment 1
		.amdhsa_system_sgpr_workgroup_id_x 1
		.amdhsa_system_sgpr_workgroup_id_y 0
		.amdhsa_system_sgpr_workgroup_id_z 0
		.amdhsa_system_sgpr_workgroup_info 0
		.amdhsa_system_vgpr_workitem_id 0
		.amdhsa_next_free_vgpr 19
		.amdhsa_next_free_sgpr 23
		.amdhsa_reserve_vcc 1
		.amdhsa_float_round_mode_32 0
		.amdhsa_float_round_mode_16_64 0
		.amdhsa_float_denorm_mode_32 3
		.amdhsa_float_denorm_mode_16_64 3
		.amdhsa_dx10_clamp 1
		.amdhsa_ieee_mode 1
		.amdhsa_fp16_overflow 0
		.amdhsa_workgroup_processor_mode 1
		.amdhsa_memory_ordered 1
		.amdhsa_forward_progress 0
		.amdhsa_shared_vgpr_count 0
		.amdhsa_exception_fp_ieee_invalid_op 0
		.amdhsa_exception_fp_denorm_src 0
		.amdhsa_exception_fp_ieee_div_zero 0
		.amdhsa_exception_fp_ieee_overflow 0
		.amdhsa_exception_fp_ieee_underflow 0
		.amdhsa_exception_fp_ieee_inexact 0
		.amdhsa_exception_int_div_zero 0
	.end_amdhsa_kernel
	.text
.Lfunc_end1:
	.size	_Z24statistical_tests_kernelPjPKdddPKhjjjj, .Lfunc_end1-_Z24statistical_tests_kernelPjPKdddPKhjjjj
                                        ; -- End function
	.section	.AMDGPU.csdata,"",@progbits
; Kernel info:
; codeLenInByte = 4392
; NumSgprs: 25
; NumVgprs: 19
; ScratchSize: 272
; MemoryBound: 0
; FloatMode: 240
; IeeeMode: 1
; LDSByteSize: 0 bytes/workgroup (compile time only)
; SGPRBlocks: 3
; VGPRBlocks: 2
; NumSGPRsForWavesPerEU: 25
; NumVGPRsForWavesPerEU: 19
; Occupancy: 16
; WaveLimiterHint : 0
; COMPUTE_PGM_RSRC2:SCRATCH_EN: 1
; COMPUTE_PGM_RSRC2:USER_SGPR: 15
; COMPUTE_PGM_RSRC2:TRAP_HANDLER: 0
; COMPUTE_PGM_RSRC2:TGID_X_EN: 1
; COMPUTE_PGM_RSRC2:TGID_Y_EN: 0
; COMPUTE_PGM_RSRC2:TGID_Z_EN: 0
; COMPUTE_PGM_RSRC2:TIDIG_COMP_CNT: 0
	.text
	.protected	_Z23binary_shuffling_kernelPhS_PKhjjj ; -- Begin function _Z23binary_shuffling_kernelPhS_PKhjjj
	.globl	_Z23binary_shuffling_kernelPhS_PKhjjj
	.p2align	8
	.type	_Z23binary_shuffling_kernelPhS_PKhjjj,@function
_Z23binary_shuffling_kernelPhS_PKhjjj:  ; @_Z23binary_shuffling_kernelPhS_PKhjjj
; %bb.0:
	s_clause 0x3
	s_load_b32 s2, s[0:1], 0x34
	s_load_b128 s[4:7], s[0:1], 0x18
	s_load_b128 s[8:11], s[0:1], 0x0
	s_load_b64 s[0:1], s[0:1], 0x10
	s_waitcnt lgkmcnt(0)
	s_and_b32 s2, s2, 0xffff
	s_cmp_eq_u32 s4, 0
	s_mul_i32 s15, s15, s2
	s_delay_alu instid0(SALU_CYCLE_1)
	v_add_nc_u32_e32 v1, s15, v0
	s_cbranch_scc1 .LBB2_4
; %bb.1:
	s_delay_alu instid0(VALU_DEP_1)
	v_dual_mov_b32 v3, 0 :: v_dual_mov_b32 v4, v1
	v_mov_b32_e32 v2, 0
	s_mov_b32 s2, s4
.LBB2_2:                                ; =>This Inner Loop Header: Depth=1
	global_load_u8 v5, v3, s[0:1]
	s_add_i32 s2, s2, -1
	s_add_u32 s0, s0, 1
	s_addc_u32 s1, s1, 0
	s_cmp_lg_u32 s2, 0
	s_waitcnt vmcnt(0)
	v_and_b32_e32 v6, 0xff, v5
	global_store_b8 v4, v5, s[8:9]
	v_add_nc_u32_e32 v4, s6, v4
	v_add_nc_u32_e32 v2, v2, v6
	s_cbranch_scc1 .LBB2_2
; %bb.3:
	s_add_i32 s0, s4, -1
	s_delay_alu instid0(SALU_CYCLE_1)
	s_cmp_eq_u32 s0, 0
	s_cbranch_scc0 .LBB2_5
	s_branch .LBB2_7
.LBB2_4:
	v_mov_b32_e32 v2, 0
	s_add_i32 s0, s4, -1
	s_delay_alu instid0(SALU_CYCLE_1)
	s_cmp_eq_u32 s0, 0
	s_cbranch_scc1 .LBB2_7
.LBB2_5:
	s_mul_i32 s1, s6, s0
	s_sub_i32 s2, 1, s4
	v_xor_b32_e32 v4, v2, v1
	v_add3_u32 v2, s15, s1, v0
	v_mov_b32_e32 v3, s2
	s_set_inst_prefetch_distance 0x1
	.p2align	6
.LBB2_6:                                ; =>This Inner Loop Header: Depth=1
	v_cvt_f32_u32_e32 v5, s0
	s_delay_alu instid0(VALU_DEP_1) | instskip(SKIP_2) | instid1(VALU_DEP_1)
	v_rcp_iflag_f32_e32 v5, v5
	s_waitcnt_depctr 0xfff
	v_mul_f32_e32 v5, 0x4f7ffffe, v5
	v_cvt_u32_f32_e32 v7, v5
	s_delay_alu instid0(VALU_DEP_1) | instskip(NEXT) | instid1(VALU_DEP_1)
	v_mul_lo_u32 v5, v3, v7
	v_mul_hi_u32 v8, v7, v5
	v_mad_u64_u32 v[5:6], null, 0xe48e2825, v4, 1
	s_delay_alu instid0(VALU_DEP_2) | instskip(NEXT) | instid1(VALU_DEP_1)
	v_add_nc_u32_e32 v4, v7, v8
	v_mul_hi_u32 v4, v5, v4
	s_delay_alu instid0(VALU_DEP_1) | instskip(NEXT) | instid1(VALU_DEP_1)
	v_mul_lo_u32 v4, v4, s0
	v_sub_nc_u32_e32 v4, v5, v4
	s_delay_alu instid0(VALU_DEP_1) | instskip(SKIP_1) | instid1(VALU_DEP_2)
	v_subrev_nc_u32_e32 v6, s0, v4
	v_cmp_le_u32_e32 vcc_lo, s0, v4
	v_cndmask_b32_e32 v4, v4, v6, vcc_lo
	s_delay_alu instid0(VALU_DEP_1) | instskip(SKIP_3) | instid1(VALU_DEP_3)
	v_add_nc_u32_e32 v6, v4, v3
	v_cmp_le_u32_e32 vcc_lo, s0, v4
	v_add_co_u32 v3, s1, v3, 1
	s_add_i32 s0, s0, -1
	v_cndmask_b32_e32 v4, v4, v6, vcc_lo
	s_and_b32 vcc_lo, exec_lo, s1
	s_delay_alu instid0(VALU_DEP_1)
	v_mad_u64_u32 v[6:7], null, v4, s6, v[1:2]
	v_mov_b32_e32 v4, v5
	s_clause 0x1
	global_load_u8 v7, v2, s[8:9]
	global_load_u8 v8, v6, s[8:9]
	s_waitcnt vmcnt(1)
	global_store_b8 v6, v7, s[8:9]
	s_waitcnt vmcnt(0)
	global_store_b8 v2, v8, s[8:9]
	v_subrev_nc_u32_e32 v2, s6, v2
	s_cbranch_vccz .LBB2_6
.LBB2_7:
	s_set_inst_prefetch_distance 0x2
	s_cmp_eq_u32 s5, 0
	s_cbranch_scc1 .LBB2_10
; %bb.8:
	v_mad_u64_u32 v[1:2], null, s6, 3, v[0:1]
	v_add_nc_u32_e32 v6, s6, v0
	v_lshl_add_u32 v7, s6, 2, v0
	v_mov_b32_e32 v8, v0
	s_lshl_b32 s0, s6, 3
	s_delay_alu instid0(VALU_DEP_4)
	v_mad_u64_u32 v[2:3], null, s6, 5, v[0:1]
	v_mad_u64_u32 v[3:4], null, s6, 6, v[0:1]
	;; [unrolled: 1-line block ×3, first 2 shown]
	v_lshl_add_u32 v5, s6, 1, v0
.LBB2_9:                                ; =>This Inner Loop Header: Depth=1
	v_add_nc_u32_e32 v9, s15, v6
	v_add_nc_u32_e32 v10, s15, v0
	s_delay_alu instid0(VALU_DEP_3)
	v_add_nc_u32_e32 v11, s15, v5
	v_add_nc_u32_e32 v12, s15, v1
	v_add_nc_u32_e32 v13, s15, v7
	s_clause 0x1
	global_load_u8 v9, v9, s[8:9]
	global_load_u8 v10, v10, s[8:9]
	v_add_nc_u32_e32 v14, s15, v2
	s_clause 0x2
	global_load_u8 v11, v11, s[8:9]
	global_load_u8 v12, v12, s[8:9]
	;; [unrolled: 1-line block ×3, first 2 shown]
	v_add_nc_u32_e32 v15, s15, v3
	s_clause 0x1
	global_load_u8 v14, v14, s[8:9]
	global_load_u8 v15, v15, s[8:9]
	v_add_nc_u32_e32 v16, s15, v4
	v_add_nc_u32_e32 v6, s0, v6
	;; [unrolled: 1-line block ×5, first 2 shown]
	global_load_u8 v16, v16, s[8:9]
	v_add_nc_u32_e32 v2, s0, v2
	v_add_nc_u32_e32 v3, s0, v3
	;; [unrolled: 1-line block ×4, first 2 shown]
	s_add_i32 s5, s5, -1
	s_delay_alu instid0(SALU_CYCLE_1)
	s_cmp_lg_u32 s5, 0
	s_waitcnt vmcnt(7)
	v_lshlrev_b16 v9, 6, v9
	s_waitcnt vmcnt(6)
	v_lshlrev_b16 v10, 7, v10
	;; [unrolled: 2-line block ×4, first 2 shown]
	v_and_b32_e32 v9, 64, v9
	s_delay_alu instid0(VALU_DEP_3) | instskip(NEXT) | instid1(VALU_DEP_3)
	v_and_b32_e32 v11, 32, v11
	v_and_b32_e32 v12, 16, v12
	s_delay_alu instid0(VALU_DEP_3) | instskip(SKIP_2) | instid1(VALU_DEP_2)
	v_or_b32_e32 v9, v9, v10
	s_waitcnt vmcnt(3)
	v_lshlrev_b16 v10, 3, v13
	v_or_b32_e32 v9, v9, v11
	s_waitcnt vmcnt(2)
	v_lshlrev_b16 v11, 2, v14
	s_delay_alu instid0(VALU_DEP_3) | instskip(NEXT) | instid1(VALU_DEP_3)
	v_and_b32_e32 v10, 8, v10
	v_or_b32_e32 v9, v9, v12
	s_waitcnt vmcnt(1)
	v_lshlrev_b16 v12, 1, v15
	v_and_b32_e32 v11, 4, v11
	s_delay_alu instid0(VALU_DEP_3) | instskip(NEXT) | instid1(VALU_DEP_3)
	v_or_b32_e32 v9, v9, v10
	v_and_b32_e32 v12, 2, v12
	v_add_nc_u32_e32 v10, s15, v8
	v_add_nc_u32_e32 v8, s6, v8
	s_delay_alu instid0(VALU_DEP_4) | instskip(SKIP_2) | instid1(VALU_DEP_2)
	v_or_b32_e32 v9, v9, v11
	s_waitcnt vmcnt(0)
	v_and_b32_e32 v11, 1, v16
	v_or_b32_e32 v9, v9, v12
	s_delay_alu instid0(VALU_DEP_1)
	v_xor_b32_e32 v9, v9, v11
	global_store_b8 v10, v9, s[10:11]
	s_cbranch_scc1 .LBB2_9
.LBB2_10:
	s_nop 0
	s_sendmsg sendmsg(MSG_DEALLOC_VGPRS)
	s_endpgm
	.section	.rodata,"a",@progbits
	.p2align	6, 0x0
	.amdhsa_kernel _Z23binary_shuffling_kernelPhS_PKhjjj
		.amdhsa_group_segment_fixed_size 0
		.amdhsa_private_segment_fixed_size 0
		.amdhsa_kernarg_size 296
		.amdhsa_user_sgpr_count 15
		.amdhsa_user_sgpr_dispatch_ptr 0
		.amdhsa_user_sgpr_queue_ptr 0
		.amdhsa_user_sgpr_kernarg_segment_ptr 1
		.amdhsa_user_sgpr_dispatch_id 0
		.amdhsa_user_sgpr_private_segment_size 0
		.amdhsa_wavefront_size32 1
		.amdhsa_uses_dynamic_stack 0
		.amdhsa_enable_private_segment 0
		.amdhsa_system_sgpr_workgroup_id_x 1
		.amdhsa_system_sgpr_workgroup_id_y 0
		.amdhsa_system_sgpr_workgroup_id_z 0
		.amdhsa_system_sgpr_workgroup_info 0
		.amdhsa_system_vgpr_workitem_id 0
		.amdhsa_next_free_vgpr 17
		.amdhsa_next_free_sgpr 16
		.amdhsa_reserve_vcc 1
		.amdhsa_float_round_mode_32 0
		.amdhsa_float_round_mode_16_64 0
		.amdhsa_float_denorm_mode_32 3
		.amdhsa_float_denorm_mode_16_64 3
		.amdhsa_dx10_clamp 1
		.amdhsa_ieee_mode 1
		.amdhsa_fp16_overflow 0
		.amdhsa_workgroup_processor_mode 1
		.amdhsa_memory_ordered 1
		.amdhsa_forward_progress 0
		.amdhsa_shared_vgpr_count 0
		.amdhsa_exception_fp_ieee_invalid_op 0
		.amdhsa_exception_fp_denorm_src 0
		.amdhsa_exception_fp_ieee_div_zero 0
		.amdhsa_exception_fp_ieee_overflow 0
		.amdhsa_exception_fp_ieee_underflow 0
		.amdhsa_exception_fp_ieee_inexact 0
		.amdhsa_exception_int_div_zero 0
	.end_amdhsa_kernel
	.text
.Lfunc_end2:
	.size	_Z23binary_shuffling_kernelPhS_PKhjjj, .Lfunc_end2-_Z23binary_shuffling_kernelPhS_PKhjjj
                                        ; -- End function
	.section	.AMDGPU.csdata,"",@progbits
; Kernel info:
; codeLenInByte = 852
; NumSgprs: 18
; NumVgprs: 17
; ScratchSize: 0
; MemoryBound: 0
; FloatMode: 240
; IeeeMode: 1
; LDSByteSize: 0 bytes/workgroup (compile time only)
; SGPRBlocks: 2
; VGPRBlocks: 2
; NumSGPRsForWavesPerEU: 18
; NumVGPRsForWavesPerEU: 17
; Occupancy: 16
; WaveLimiterHint : 0
; COMPUTE_PGM_RSRC2:SCRATCH_EN: 0
; COMPUTE_PGM_RSRC2:USER_SGPR: 15
; COMPUTE_PGM_RSRC2:TRAP_HANDLER: 0
; COMPUTE_PGM_RSRC2:TGID_X_EN: 1
; COMPUTE_PGM_RSRC2:TGID_Y_EN: 0
; COMPUTE_PGM_RSRC2:TGID_Z_EN: 0
; COMPUTE_PGM_RSRC2:TIDIG_COMP_CNT: 0
	.text
	.protected	_Z31binary_statistical_tests_kernelPjPKdddPKhS3_jjjjj ; -- Begin function _Z31binary_statistical_tests_kernelPjPKdddPKhS3_jjjjj
	.globl	_Z31binary_statistical_tests_kernelPjPKdddPKhS3_jjjjj
	.p2align	8
	.type	_Z31binary_statistical_tests_kernelPjPKdddPKhS3_jjjjj,@function
_Z31binary_statistical_tests_kernelPjPKdddPKhS3_jjjjj: ; @_Z31binary_statistical_tests_kernelPjPKdddPKhS3_jjjjj
; %bb.0:
	s_clause 0x1
	s_load_b128 s[16:19], s[0:1], 0x34
	s_load_b128 s[20:23], s[0:1], 0x20
	s_waitcnt lgkmcnt(0)
	v_cvt_f32_u32_e32 v1, s19
	s_sub_i32 s3, 0, s19
	s_delay_alu instid0(VALU_DEP_1) | instskip(SKIP_2) | instid1(VALU_DEP_1)
	v_rcp_iflag_f32_e32 v1, v1
	s_waitcnt_depctr 0xfff
	v_mul_f32_e32 v1, 0x4f7ffffe, v1
	v_cvt_u32_f32_e32 v1, v1
	s_delay_alu instid0(VALU_DEP_1) | instskip(NEXT) | instid1(VALU_DEP_1)
	v_readfirstlane_b32 s2, v1
	s_mul_i32 s3, s3, s2
	s_delay_alu instid0(SALU_CYCLE_1) | instskip(NEXT) | instid1(SALU_CYCLE_1)
	s_mul_hi_u32 s3, s2, s3
	s_add_i32 s2, s2, s3
	s_load_b32 s3, s[0:1], 0x54
	s_mul_hi_u32 s2, s15, s2
	s_delay_alu instid0(SALU_CYCLE_1)
	s_mul_i32 s4, s2, s19
	s_add_i32 s13, s2, 1
	s_sub_i32 s12, s15, s4
	s_load_b256 s[4:11], s[0:1], 0x0
	s_sub_i32 s14, s12, s19
	s_cmp_ge_u32 s12, s19
	s_cselect_b32 s0, s13, s2
	s_cselect_b32 s1, s14, s12
	s_add_i32 s2, s0, 1
	s_cmp_ge_u32 s1, s19
	s_cselect_b32 s25, s2, s0
	s_delay_alu instid0(SALU_CYCLE_1) | instskip(NEXT) | instid1(SALU_CYCLE_1)
	s_mul_i32 s0, s25, s19
	s_sub_i32 s24, s15, s0
	s_waitcnt lgkmcnt(0)
	s_and_b32 s0, s3, 0xffff
	s_cmp_ge_u32 s15, s19
	s_mul_i32 s24, s24, s0
	s_mov_b32 s0, 0
	v_add_nc_u32_e32 v19, s24, v0
	s_cbranch_scc0 .LBB3_29
; %bb.1:
	s_cmp_lt_i32 s25, 2
	s_cbranch_scc1 .LBB3_30
; %bb.2:
	s_cmp_gt_i32 s25, 2
	s_cbranch_scc0 .LBB3_31
; %bb.3:
	s_cmp_eq_u32 s25, 3
	s_mov_b32 s2, 0
	s_cbranch_scc0 .LBB3_32
; %bb.4:
	v_mov_b32_e32 v1, 0
	v_mov_b32_e32 v2, 0
	s_cmp_eq_u32 s17, 1
	s_delay_alu instid0(VALU_DEP_1)
	v_dual_mov_b32 v4, v2 :: v_dual_mov_b32 v3, v1
	s_cbranch_scc1 .LBB3_7
; %bb.5:
	global_load_u8 v5, v19, s[22:23]
	v_dual_mov_b32 v1, 0 :: v_dual_mov_b32 v6, v19
	v_mov_b32_e32 v2, 0
	s_add_i32 s0, s17, -1
	s_delay_alu instid0(VALU_DEP_1)
	v_dual_mov_b32 v4, v2 :: v_dual_mov_b32 v3, v1
.LBB3_6:                                ; =>This Inner Loop Header: Depth=1
	s_delay_alu instid0(VALU_DEP_3)
	v_add_nc_u32_e32 v6, s18, v6
	s_waitcnt vmcnt(0)
	v_lshrrev_b16 v7, 7, v5
	v_lshrrev_b16 v8, 6, v5
	v_lshrrev_b16 v9, 5, v5
	v_lshrrev_b16 v10, 4, v5
	v_lshrrev_b16 v11, 3, v5
	v_lshrrev_b16 v12, 2, v5
	v_lshrrev_b16 v13, 1, v5
	v_and_b32_e32 v14, 1, v5
	global_load_u8 v5, v6, s[22:23]
	v_and_b32_e32 v7, 1, v7
	v_and_b32_e32 v8, 1, v8
	;; [unrolled: 1-line block ×5, first 2 shown]
	v_add_nc_u16 v7, v14, v7
	v_and_b32_e32 v12, 1, v12
	s_add_i32 s0, s0, -1
	s_delay_alu instid0(SALU_CYCLE_1) | instskip(NEXT) | instid1(VALU_DEP_2)
	s_cmp_lg_u32 s0, 0
	v_add_nc_u16 v7, v7, v8
	s_delay_alu instid0(VALU_DEP_1) | instskip(NEXT) | instid1(VALU_DEP_1)
	v_add_nc_u16 v7, v7, v9
	v_add_nc_u16 v7, v7, v10
	s_delay_alu instid0(VALU_DEP_1) | instskip(NEXT) | instid1(VALU_DEP_1)
	v_add_nc_u16 v7, v7, v11
	v_add_nc_u16 v7, v7, v12
	s_waitcnt vmcnt(0)
	v_lshrrev_b16 v15, 7, v5
	v_lshrrev_b16 v16, 6, v5
	v_and_b32_e32 v17, 1, v5
	v_lshrrev_b16 v14, 5, v5
	v_lshrrev_b16 v8, 4, v5
	;; [unrolled: 1-line block ×3, first 2 shown]
	v_and_b32_e32 v16, 1, v16
	v_add_nc_u16 v15, v17, v15
	v_and_b32_e32 v14, 1, v14
	v_and_b32_e32 v8, 1, v8
	v_lshrrev_b16 v10, 2, v5
	v_and_b32_e32 v9, 1, v9
	v_add_nc_u16 v15, v15, v16
	v_lshrrev_b16 v11, 1, v5
	s_delay_alu instid0(VALU_DEP_4) | instskip(NEXT) | instid1(VALU_DEP_3)
	v_and_b32_e32 v10, 1, v10
	v_add_nc_u16 v14, v15, v14
	s_delay_alu instid0(VALU_DEP_3) | instskip(NEXT) | instid1(VALU_DEP_2)
	v_and_b32_e32 v11, 1, v11
	v_add_nc_u16 v8, v14, v8
	s_delay_alu instid0(VALU_DEP_1) | instskip(SKIP_1) | instid1(VALU_DEP_2)
	v_add_nc_u16 v8, v8, v9
	v_and_b32_e32 v9, 1, v13
	v_add_nc_u16 v8, v8, v10
	s_delay_alu instid0(VALU_DEP_2) | instskip(SKIP_1) | instid1(VALU_DEP_3)
	v_add_nc_u16 v12, v7, v9
	v_add_f64 v[9:10], v[3:4], 1.0
	v_add_nc_u16 v11, v8, v11
	s_delay_alu instid0(VALU_DEP_1) | instskip(NEXT) | instid1(VALU_DEP_1)
	v_mul_lo_u16 v7, v11, v12
	v_and_b32_e32 v7, 0xff, v7
	s_delay_alu instid0(VALU_DEP_1) | instskip(NEXT) | instid1(VALU_DEP_1)
	v_and_b32_e32 v7, 0xffff, v7
	v_cvt_f64_u32_e32 v[7:8], v7
	s_delay_alu instid0(VALU_DEP_1) | instskip(SKIP_2) | instid1(VALU_DEP_1)
	v_add_f64 v[1:2], v[1:2], v[7:8]
	v_and_b32_e32 v7, 0xff, v12
	v_and_b32_e32 v8, 0xff, v11
	v_cmp_eq_u16_e32 vcc_lo, v7, v8
	v_dual_cndmask_b32 v4, v4, v10 :: v_dual_cndmask_b32 v3, v3, v9
	s_cbranch_scc1 .LBB3_6
.LBB3_7:
	s_load_b64 s[0:1], s[6:7], 0x40
	v_dual_mov_b32 v5, 0x64 :: v_dual_mov_b32 v6, 0
	s_cmp_eq_u32 s17, 2
	s_waitcnt lgkmcnt(0)
	v_cmp_eq_f64_e32 vcc_lo, s[0:1], v[3:4]
	s_delay_alu instid0(VALU_DEP_2) | instskip(SKIP_1) | instid1(VALU_DEP_2)
	v_cndmask_b32_e32 v5, 0x68, v5, vcc_lo
	v_cmp_nlt_f64_e32 vcc_lo, s[0:1], v[3:4]
	v_cndmask_b32_e32 v3, 0x60, v5, vcc_lo
	v_mov_b32_e32 v5, 1
	s_delay_alu instid0(VALU_DEP_2) | instskip(NEXT) | instid1(VALU_DEP_1)
	v_add_co_u32 v3, s0, s4, v3
	v_add_co_ci_u32_e64 v4, null, s5, 0, s0
	global_atomic_add_u32 v[3:4], v5, off
	global_load_b64 v[3:4], v6, s[6:7] offset:104
	v_mov_b32_e32 v6, 0xa0
	s_waitcnt vmcnt(0)
	v_cmp_eq_f64_e32 vcc_lo, v[1:2], v[3:4]
	s_delay_alu instid0(VALU_DEP_2) | instskip(SKIP_1) | instid1(VALU_DEP_2)
	v_cndmask_b32_e32 v6, 0xa4, v6, vcc_lo
	v_cmp_ngt_f64_e32 vcc_lo, v[1:2], v[3:4]
	v_cndmask_b32_e32 v1, 0x9c, v6, vcc_lo
	s_delay_alu instid0(VALU_DEP_1) | instskip(NEXT) | instid1(VALU_DEP_1)
	v_add_co_u32 v1, s0, s4, v1
	v_add_co_ci_u32_e64 v2, null, s5, 0, s0
	global_atomic_add_u32 v[1:2], v5, off
	v_mov_b32_e32 v1, 0
	v_mov_b32_e32 v2, 0
	s_delay_alu instid0(VALU_DEP_1)
	v_dual_mov_b32 v4, v2 :: v_dual_mov_b32 v3, v1
	s_cbranch_scc1 .LBB3_10
; %bb.8:
	v_mov_b32_e32 v1, 0
	v_dual_mov_b32 v2, 0 :: v_dual_mov_b32 v5, v19
	s_lshl_b32 s0, s18, 1
	s_add_i32 s1, s17, -2
	s_delay_alu instid0(VALU_DEP_1)
	v_dual_mov_b32 v4, v2 :: v_dual_mov_b32 v3, v1
.LBB3_9:                                ; =>This Inner Loop Header: Depth=1
	s_delay_alu instid0(VALU_DEP_2)
	v_add_nc_u32_e32 v6, s0, v5
	s_add_i32 s1, s1, -1
	s_clause 0x1
	global_load_u8 v7, v5, s[22:23]
	global_load_u8 v6, v6, s[22:23]
	v_add_nc_u32_e32 v5, s18, v5
	s_cmp_lg_u32 s1, 0
	s_waitcnt vmcnt(1)
	v_lshrrev_b16 v8, 7, v7
	v_lshrrev_b16 v9, 6, v7
	;; [unrolled: 1-line block ×7, first 2 shown]
	v_and_b32_e32 v7, 1, v7
	s_waitcnt vmcnt(0)
	v_lshrrev_b16 v15, 7, v6
	v_lshrrev_b16 v16, 6, v6
	v_and_b32_e32 v17, 1, v6
	v_and_b32_e32 v9, 1, v9
	v_add_nc_u16 v7, v7, v8
	v_lshrrev_b16 v8, 5, v6
	v_and_b32_e32 v16, 1, v16
	v_add_nc_u16 v15, v17, v15
	v_and_b32_e32 v10, 1, v10
	v_lshrrev_b16 v17, 4, v6
	v_add_nc_u16 v7, v7, v9
	v_and_b32_e32 v8, 1, v8
	v_add_nc_u16 v9, v15, v16
	v_and_b32_e32 v11, 1, v11
	v_lshrrev_b16 v15, 3, v6
	v_and_b32_e32 v16, 1, v17
	v_add_nc_u16 v7, v7, v10
	v_add_nc_u16 v8, v9, v8
	v_and_b32_e32 v9, 1, v12
	v_lshrrev_b16 v10, 2, v6
	v_and_b32_e32 v12, 1, v15
	v_add_nc_u16 v7, v7, v11
	;; [unrolled: 5-line block ×3, first 2 shown]
	v_add_nc_u16 v8, v8, v12
	v_and_b32_e32 v9, 1, v14
	v_and_b32_e32 v6, 1, v6
	s_delay_alu instid0(VALU_DEP_4) | instskip(NEXT) | instid1(VALU_DEP_4)
	v_add_nc_u16 v7, v7, v11
	v_add_nc_u16 v8, v8, v10
	s_delay_alu instid0(VALU_DEP_2) | instskip(NEXT) | instid1(VALU_DEP_2)
	v_add_nc_u16 v10, v7, v9
	v_add_nc_u16 v11, v8, v6
	v_add_f64 v[8:9], v[3:4], 1.0
	s_delay_alu instid0(VALU_DEP_2) | instskip(NEXT) | instid1(VALU_DEP_1)
	v_mul_lo_u16 v6, v11, v10
	v_and_b32_e32 v6, 0xff, v6
	s_delay_alu instid0(VALU_DEP_1) | instskip(NEXT) | instid1(VALU_DEP_1)
	v_and_b32_e32 v6, 0xffff, v6
	v_cvt_f64_u32_e32 v[6:7], v6
	s_delay_alu instid0(VALU_DEP_1) | instskip(SKIP_2) | instid1(VALU_DEP_1)
	v_add_f64 v[1:2], v[1:2], v[6:7]
	v_and_b32_e32 v6, 0xff, v10
	v_and_b32_e32 v7, 0xff, v11
	v_cmp_eq_u16_e32 vcc_lo, v6, v7
	v_dual_cndmask_b32 v4, v4, v9 :: v_dual_cndmask_b32 v3, v3, v8
	s_cbranch_scc1 .LBB3_9
.LBB3_10:
	v_dual_mov_b32 v7, 0 :: v_dual_mov_b32 v8, 0x70
	s_cmp_eq_u32 s17, 8
	global_load_b64 v[5:6], v7, s[6:7] offset:72
	s_waitcnt vmcnt(0)
	v_cmp_eq_f64_e32 vcc_lo, v[3:4], v[5:6]
	v_cndmask_b32_e32 v8, 0x74, v8, vcc_lo
	v_cmp_ngt_f64_e32 vcc_lo, v[3:4], v[5:6]
	v_dual_mov_b32 v5, 1 :: v_dual_mov_b32 v6, 0xac
	s_delay_alu instid0(VALU_DEP_3) | instskip(NEXT) | instid1(VALU_DEP_1)
	v_cndmask_b32_e32 v3, 0x6c, v8, vcc_lo
	v_add_co_u32 v3, s0, s4, v3
	s_delay_alu instid0(VALU_DEP_1)
	v_add_co_ci_u32_e64 v4, null, s5, 0, s0
	global_atomic_add_u32 v[3:4], v5, off
	global_load_b64 v[3:4], v7, s[6:7] offset:112
	s_waitcnt vmcnt(0)
	v_cmp_eq_f64_e32 vcc_lo, v[1:2], v[3:4]
	v_cndmask_b32_e32 v6, 0xb0, v6, vcc_lo
	v_cmp_ngt_f64_e32 vcc_lo, v[1:2], v[3:4]
	s_delay_alu instid0(VALU_DEP_2) | instskip(NEXT) | instid1(VALU_DEP_1)
	v_cndmask_b32_e32 v1, 0xa8, v6, vcc_lo
	v_add_co_u32 v1, s0, s4, v1
	s_delay_alu instid0(VALU_DEP_1) | instskip(SKIP_3) | instid1(VALU_DEP_1)
	v_add_co_ci_u32_e64 v2, null, s5, 0, s0
	global_atomic_add_u32 v[1:2], v5, off
	v_mov_b32_e32 v1, 0
	v_mov_b32_e32 v2, 0
	v_dual_mov_b32 v4, v2 :: v_dual_mov_b32 v3, v1
	s_cbranch_scc1 .LBB3_13
; %bb.11:
	v_mov_b32_e32 v1, 0
	v_dual_mov_b32 v2, 0 :: v_dual_mov_b32 v5, v19
	s_lshl_b32 s0, s18, 3
	s_add_i32 s1, s17, -8
	s_delay_alu instid0(VALU_DEP_1)
	v_dual_mov_b32 v4, v2 :: v_dual_mov_b32 v3, v1
.LBB3_12:                               ; =>This Inner Loop Header: Depth=1
	s_delay_alu instid0(VALU_DEP_2)
	v_add_nc_u32_e32 v6, s0, v5
	s_add_i32 s1, s1, -1
	s_clause 0x1
	global_load_u8 v7, v5, s[22:23]
	global_load_u8 v6, v6, s[22:23]
	v_add_nc_u32_e32 v5, s18, v5
	s_cmp_lg_u32 s1, 0
	s_waitcnt vmcnt(1)
	v_lshrrev_b16 v8, 7, v7
	v_lshrrev_b16 v9, 6, v7
	;; [unrolled: 1-line block ×7, first 2 shown]
	v_and_b32_e32 v7, 1, v7
	s_waitcnt vmcnt(0)
	v_lshrrev_b16 v15, 7, v6
	v_lshrrev_b16 v16, 6, v6
	v_and_b32_e32 v17, 1, v6
	v_and_b32_e32 v9, 1, v9
	v_add_nc_u16 v7, v7, v8
	v_lshrrev_b16 v8, 5, v6
	v_and_b32_e32 v16, 1, v16
	v_add_nc_u16 v15, v17, v15
	v_and_b32_e32 v10, 1, v10
	v_lshrrev_b16 v17, 4, v6
	v_add_nc_u16 v7, v7, v9
	v_and_b32_e32 v8, 1, v8
	v_add_nc_u16 v9, v15, v16
	v_and_b32_e32 v11, 1, v11
	v_lshrrev_b16 v15, 3, v6
	v_and_b32_e32 v16, 1, v17
	v_add_nc_u16 v7, v7, v10
	v_add_nc_u16 v8, v9, v8
	v_and_b32_e32 v9, 1, v12
	v_lshrrev_b16 v10, 2, v6
	v_and_b32_e32 v12, 1, v15
	v_add_nc_u16 v7, v7, v11
	v_add_nc_u16 v8, v8, v16
	v_and_b32_e32 v11, 1, v13
	v_lshrrev_b16 v6, 1, v6
	v_and_b32_e32 v10, 1, v10
	v_add_nc_u16 v7, v7, v9
	v_add_nc_u16 v8, v8, v12
	v_and_b32_e32 v9, 1, v14
	v_and_b32_e32 v6, 1, v6
	s_delay_alu instid0(VALU_DEP_4) | instskip(NEXT) | instid1(VALU_DEP_4)
	v_add_nc_u16 v7, v7, v11
	v_add_nc_u16 v8, v8, v10
	s_delay_alu instid0(VALU_DEP_2) | instskip(NEXT) | instid1(VALU_DEP_2)
	v_add_nc_u16 v10, v7, v9
	v_add_nc_u16 v11, v8, v6
	v_add_f64 v[8:9], v[3:4], 1.0
	s_delay_alu instid0(VALU_DEP_2) | instskip(NEXT) | instid1(VALU_DEP_1)
	v_mul_lo_u16 v6, v11, v10
	v_and_b32_e32 v6, 0xff, v6
	s_delay_alu instid0(VALU_DEP_1) | instskip(NEXT) | instid1(VALU_DEP_1)
	v_and_b32_e32 v6, 0xffff, v6
	v_cvt_f64_u32_e32 v[6:7], v6
	s_delay_alu instid0(VALU_DEP_1) | instskip(SKIP_2) | instid1(VALU_DEP_1)
	v_add_f64 v[1:2], v[1:2], v[6:7]
	v_and_b32_e32 v6, 0xff, v10
	v_and_b32_e32 v7, 0xff, v11
	v_cmp_eq_u16_e32 vcc_lo, v6, v7
	v_dual_cndmask_b32 v4, v4, v9 :: v_dual_cndmask_b32 v3, v3, v8
	s_cbranch_scc1 .LBB3_12
.LBB3_13:
	v_dual_mov_b32 v7, 0 :: v_dual_mov_b32 v8, 0x7c
	s_cmp_eq_u32 s17, 16
	global_load_b64 v[5:6], v7, s[6:7] offset:80
	s_waitcnt vmcnt(0)
	v_cmp_eq_f64_e32 vcc_lo, v[3:4], v[5:6]
	v_cndmask_b32_e32 v8, 0x80, v8, vcc_lo
	v_cmp_ngt_f64_e32 vcc_lo, v[3:4], v[5:6]
	v_dual_mov_b32 v5, 1 :: v_dual_mov_b32 v6, 0xb8
	s_delay_alu instid0(VALU_DEP_3) | instskip(NEXT) | instid1(VALU_DEP_1)
	v_cndmask_b32_e32 v3, 0x78, v8, vcc_lo
	v_add_co_u32 v3, s0, s4, v3
	s_delay_alu instid0(VALU_DEP_1)
	v_add_co_ci_u32_e64 v4, null, s5, 0, s0
	global_atomic_add_u32 v[3:4], v5, off
	global_load_b64 v[3:4], v7, s[6:7] offset:120
	s_waitcnt vmcnt(0)
	v_cmp_eq_f64_e32 vcc_lo, v[1:2], v[3:4]
	v_cndmask_b32_e32 v6, 0xbc, v6, vcc_lo
	v_cmp_ngt_f64_e32 vcc_lo, v[1:2], v[3:4]
	s_delay_alu instid0(VALU_DEP_2) | instskip(NEXT) | instid1(VALU_DEP_1)
	v_cndmask_b32_e32 v1, 0xb4, v6, vcc_lo
	v_add_co_u32 v1, s0, s4, v1
	s_delay_alu instid0(VALU_DEP_1) | instskip(SKIP_3) | instid1(VALU_DEP_1)
	v_add_co_ci_u32_e64 v2, null, s5, 0, s0
	global_atomic_add_u32 v[1:2], v5, off
	v_mov_b32_e32 v1, 0
	v_mov_b32_e32 v2, 0
	v_dual_mov_b32 v4, v2 :: v_dual_mov_b32 v3, v1
	s_cbranch_scc1 .LBB3_16
; %bb.14:
	v_mov_b32_e32 v1, 0
	v_dual_mov_b32 v2, 0 :: v_dual_mov_b32 v5, v19
	s_lshl_b32 s0, s18, 4
	s_add_i32 s1, s17, -16
	s_delay_alu instid0(VALU_DEP_1)
	v_dual_mov_b32 v4, v2 :: v_dual_mov_b32 v3, v1
.LBB3_15:                               ; =>This Inner Loop Header: Depth=1
	s_delay_alu instid0(VALU_DEP_2)
	v_add_nc_u32_e32 v6, s0, v5
	s_add_i32 s1, s1, -1
	s_clause 0x1
	global_load_u8 v7, v5, s[22:23]
	global_load_u8 v6, v6, s[22:23]
	v_add_nc_u32_e32 v5, s18, v5
	s_cmp_lg_u32 s1, 0
	s_waitcnt vmcnt(1)
	v_lshrrev_b16 v8, 7, v7
	v_lshrrev_b16 v9, 6, v7
	;; [unrolled: 1-line block ×7, first 2 shown]
	v_and_b32_e32 v7, 1, v7
	s_waitcnt vmcnt(0)
	v_lshrrev_b16 v15, 7, v6
	v_lshrrev_b16 v16, 6, v6
	v_and_b32_e32 v17, 1, v6
	v_and_b32_e32 v9, 1, v9
	v_add_nc_u16 v7, v7, v8
	v_lshrrev_b16 v8, 5, v6
	v_and_b32_e32 v16, 1, v16
	v_add_nc_u16 v15, v17, v15
	v_and_b32_e32 v10, 1, v10
	v_lshrrev_b16 v17, 4, v6
	v_add_nc_u16 v7, v7, v9
	v_and_b32_e32 v8, 1, v8
	v_add_nc_u16 v9, v15, v16
	v_and_b32_e32 v11, 1, v11
	v_lshrrev_b16 v15, 3, v6
	v_and_b32_e32 v16, 1, v17
	v_add_nc_u16 v7, v7, v10
	v_add_nc_u16 v8, v9, v8
	v_and_b32_e32 v9, 1, v12
	v_lshrrev_b16 v10, 2, v6
	v_and_b32_e32 v12, 1, v15
	v_add_nc_u16 v7, v7, v11
	;; [unrolled: 5-line block ×3, first 2 shown]
	v_add_nc_u16 v8, v8, v12
	v_and_b32_e32 v9, 1, v14
	v_and_b32_e32 v6, 1, v6
	s_delay_alu instid0(VALU_DEP_4) | instskip(NEXT) | instid1(VALU_DEP_4)
	v_add_nc_u16 v7, v7, v11
	v_add_nc_u16 v8, v8, v10
	s_delay_alu instid0(VALU_DEP_2) | instskip(NEXT) | instid1(VALU_DEP_2)
	v_add_nc_u16 v10, v7, v9
	v_add_nc_u16 v11, v8, v6
	v_add_f64 v[8:9], v[3:4], 1.0
	s_delay_alu instid0(VALU_DEP_2) | instskip(NEXT) | instid1(VALU_DEP_1)
	v_mul_lo_u16 v6, v11, v10
	v_and_b32_e32 v6, 0xff, v6
	s_delay_alu instid0(VALU_DEP_1) | instskip(NEXT) | instid1(VALU_DEP_1)
	v_and_b32_e32 v6, 0xffff, v6
	v_cvt_f64_u32_e32 v[6:7], v6
	s_delay_alu instid0(VALU_DEP_1) | instskip(SKIP_2) | instid1(VALU_DEP_1)
	v_add_f64 v[1:2], v[1:2], v[6:7]
	v_and_b32_e32 v6, 0xff, v10
	v_and_b32_e32 v7, 0xff, v11
	v_cmp_eq_u16_e32 vcc_lo, v6, v7
	v_dual_cndmask_b32 v4, v4, v9 :: v_dual_cndmask_b32 v3, v3, v8
	s_cbranch_scc1 .LBB3_15
.LBB3_16:
	v_dual_mov_b32 v7, 0 :: v_dual_mov_b32 v8, 0x88
	s_cmp_eq_u32 s17, 32
	global_load_b64 v[5:6], v7, s[6:7] offset:88
	s_waitcnt vmcnt(0)
	v_cmp_eq_f64_e32 vcc_lo, v[3:4], v[5:6]
	v_cndmask_b32_e32 v8, 0x8c, v8, vcc_lo
	v_cmp_ngt_f64_e32 vcc_lo, v[3:4], v[5:6]
	v_dual_mov_b32 v5, 1 :: v_dual_mov_b32 v6, 0xc4
	s_delay_alu instid0(VALU_DEP_3) | instskip(NEXT) | instid1(VALU_DEP_1)
	v_cndmask_b32_e32 v3, 0x84, v8, vcc_lo
	v_add_co_u32 v3, s0, s4, v3
	s_delay_alu instid0(VALU_DEP_1)
	v_add_co_ci_u32_e64 v4, null, s5, 0, s0
	global_atomic_add_u32 v[3:4], v5, off
	global_load_b64 v[3:4], v7, s[6:7] offset:128
	s_waitcnt vmcnt(0)
	v_cmp_eq_f64_e32 vcc_lo, v[1:2], v[3:4]
	v_cndmask_b32_e32 v6, 0xc8, v6, vcc_lo
	v_cmp_ngt_f64_e32 vcc_lo, v[1:2], v[3:4]
	v_mov_b32_e32 v3, 0
	s_delay_alu instid0(VALU_DEP_3) | instskip(NEXT) | instid1(VALU_DEP_1)
	v_dual_mov_b32 v4, 0 :: v_dual_cndmask_b32 v1, 0xc0, v6
	v_add_co_u32 v1, s0, s4, v1
	s_delay_alu instid0(VALU_DEP_1)
	v_add_co_ci_u32_e64 v2, null, s5, 0, s0
	global_atomic_add_u32 v[1:2], v5, off
	v_dual_mov_b32 v1, v3 :: v_dual_mov_b32 v2, v4
	s_cbranch_scc1 .LBB3_19
; %bb.17:
	v_mov_b32_e32 v3, 0
	v_dual_mov_b32 v4, 0 :: v_dual_mov_b32 v5, v19
	s_delay_alu instid0(VALU_DEP_2) | instskip(SKIP_2) | instid1(VALU_DEP_2)
	v_mov_b32_e32 v1, v3
	s_lshl_b32 s0, s18, 5
	s_sub_i32 s1, s17, 32
	v_mov_b32_e32 v2, v4
.LBB3_18:                               ; =>This Inner Loop Header: Depth=1
	v_add_nc_u32_e32 v6, s0, v5
	s_add_i32 s1, s1, -1
	s_clause 0x1
	global_load_u8 v7, v5, s[22:23]
	global_load_u8 v6, v6, s[22:23]
	v_add_nc_u32_e32 v5, s18, v5
	s_cmp_lg_u32 s1, 0
	s_waitcnt vmcnt(1)
	v_lshrrev_b16 v8, 7, v7
	v_lshrrev_b16 v9, 6, v7
	;; [unrolled: 1-line block ×7, first 2 shown]
	v_and_b32_e32 v7, 1, v7
	s_waitcnt vmcnt(0)
	v_lshrrev_b16 v15, 7, v6
	v_lshrrev_b16 v16, 6, v6
	v_and_b32_e32 v17, 1, v6
	v_and_b32_e32 v9, 1, v9
	v_add_nc_u16 v7, v7, v8
	v_lshrrev_b16 v8, 5, v6
	v_and_b32_e32 v16, 1, v16
	v_add_nc_u16 v15, v17, v15
	v_and_b32_e32 v10, 1, v10
	v_lshrrev_b16 v17, 4, v6
	v_add_nc_u16 v7, v7, v9
	v_and_b32_e32 v8, 1, v8
	v_add_nc_u16 v9, v15, v16
	v_and_b32_e32 v11, 1, v11
	v_lshrrev_b16 v15, 3, v6
	v_and_b32_e32 v16, 1, v17
	v_add_nc_u16 v7, v7, v10
	v_add_nc_u16 v8, v9, v8
	v_and_b32_e32 v9, 1, v12
	v_lshrrev_b16 v10, 2, v6
	v_and_b32_e32 v12, 1, v15
	v_add_nc_u16 v7, v7, v11
	;; [unrolled: 5-line block ×3, first 2 shown]
	v_add_nc_u16 v8, v8, v12
	v_and_b32_e32 v9, 1, v14
	v_and_b32_e32 v6, 1, v6
	s_delay_alu instid0(VALU_DEP_4) | instskip(NEXT) | instid1(VALU_DEP_4)
	v_add_nc_u16 v7, v7, v11
	v_add_nc_u16 v8, v8, v10
	s_delay_alu instid0(VALU_DEP_2) | instskip(NEXT) | instid1(VALU_DEP_2)
	v_add_nc_u16 v10, v7, v9
	v_add_nc_u16 v11, v8, v6
	v_add_f64 v[8:9], v[1:2], 1.0
	s_delay_alu instid0(VALU_DEP_2) | instskip(NEXT) | instid1(VALU_DEP_1)
	v_mul_lo_u16 v6, v11, v10
	v_and_b32_e32 v6, 0xff, v6
	s_delay_alu instid0(VALU_DEP_1) | instskip(NEXT) | instid1(VALU_DEP_1)
	v_and_b32_e32 v6, 0xffff, v6
	v_cvt_f64_u32_e32 v[6:7], v6
	s_delay_alu instid0(VALU_DEP_1) | instskip(SKIP_2) | instid1(VALU_DEP_1)
	v_add_f64 v[3:4], v[3:4], v[6:7]
	v_and_b32_e32 v6, 0xff, v10
	v_and_b32_e32 v7, 0xff, v11
	v_cmp_eq_u16_e32 vcc_lo, v6, v7
	v_dual_cndmask_b32 v2, v2, v9 :: v_dual_cndmask_b32 v1, v1, v8
	s_cbranch_scc1 .LBB3_18
.LBB3_19:
	v_dual_mov_b32 v7, 0 :: v_dual_mov_b32 v8, 0x94
	global_load_b64 v[5:6], v7, s[6:7] offset:96
	s_waitcnt vmcnt(0)
	v_cmp_eq_f64_e32 vcc_lo, v[1:2], v[5:6]
	v_cndmask_b32_e32 v8, 0x98, v8, vcc_lo
	v_cmp_ngt_f64_e32 vcc_lo, v[1:2], v[5:6]
	v_mov_b32_e32 v5, 1
	s_delay_alu instid0(VALU_DEP_3) | instskip(NEXT) | instid1(VALU_DEP_1)
	v_cndmask_b32_e32 v1, 0x90, v8, vcc_lo
	v_add_co_u32 v1, s0, s4, v1
	s_delay_alu instid0(VALU_DEP_1)
	v_add_co_ci_u32_e64 v2, null, s5, 0, s0
	s_mov_b32 s0, exec_lo
	global_atomic_add_u32 v[1:2], v5, off
	global_load_b64 v[5:6], v7, s[6:7] offset:136
                                        ; implicit-def: $vgpr1_vgpr2
	s_waitcnt vmcnt(0)
	v_cmpx_ngt_f64_e32 v[3:4], v[5:6]
	s_xor_b32 s3, exec_lo, s0
	s_cbranch_execz .LBB3_25
; %bb.20:
	s_mov_b32 s12, exec_lo
                                        ; implicit-def: $sgpr0_sgpr1
	v_cmpx_neq_f64_e32 v[3:4], v[5:6]
	s_xor_b32 s12, exec_lo, s12
; %bb.21:
	s_add_u32 s0, s4, 0xd4
	s_addc_u32 s1, s5, 0
; %bb.22:
	s_or_saveexec_b32 s12, s12
	v_dual_mov_b32 v2, s1 :: v_dual_mov_b32 v1, s0
	s_xor_b32 exec_lo, exec_lo, s12
; %bb.23:
	s_add_u32 s0, s4, 0xd0
	s_addc_u32 s1, s5, 0
	s_delay_alu instid0(SALU_CYCLE_1)
	v_dual_mov_b32 v2, s1 :: v_dual_mov_b32 v1, s0
; %bb.24:
	s_or_b32 exec_lo, exec_lo, s12
.LBB3_25:
	s_and_not1_saveexec_b32 s0, s3
; %bb.26:
	s_add_u32 s12, s4, 0xcc
	s_addc_u32 s13, s5, 0
	s_delay_alu instid0(SALU_CYCLE_1)
	v_dual_mov_b32 v1, s12 :: v_dual_mov_b32 v2, s13
; %bb.27:
	s_or_b32 exec_lo, exec_lo, s0
	s_mov_b32 s0, -1
	s_and_b32 vcc_lo, exec_lo, s2
	s_cbranch_vccnz .LBB3_33
.LBB3_28:
	s_branch .LBB3_59
.LBB3_29:
                                        ; implicit-def: $vgpr1_vgpr2
	s_cbranch_execnz .LBB3_79
	s_branch .LBB3_91
.LBB3_30:
                                        ; implicit-def: $vgpr1_vgpr2
	s_cbranch_execnz .LBB3_55
	s_branch .LBB3_59
.LBB3_31:
	s_mov_b32 s2, -1
.LBB3_32:
                                        ; implicit-def: $vgpr1_vgpr2
	s_delay_alu instid0(SALU_CYCLE_1)
	s_and_b32 vcc_lo, exec_lo, s2
	s_cbranch_vccz .LBB3_28
.LBB3_33:
	s_mov_b32 s12, 0
	s_cmp_eq_u32 s17, 0
	s_mov_b32 s13, s12
	s_mov_b32 s14, s12
	;; [unrolled: 1-line block ×3, first 2 shown]
	v_dual_mov_b32 v1, s12 :: v_dual_mov_b32 v2, s13
	v_dual_mov_b32 v3, s14 :: v_dual_mov_b32 v4, s15
	s_clause 0xa
	scratch_store_b128 off, v[1:4], off offset:240
	scratch_store_b128 off, v[1:4], off offset:224
	;; [unrolled: 1-line block ×11, first 2 shown]
	s_cbranch_scc1 .LBB3_45
; %bb.34:
	v_mov_b32_e32 v13, 0
	v_dual_mov_b32 v5, 0 :: v_dual_mov_b32 v14, 0
	v_add_co_u32 v9, s0, s22, v19
	v_mov_b32_e32 v7, 0
	v_dual_mov_b32 v1, s12 :: v_dual_mov_b32 v4, s15
	v_add_co_ci_u32_e64 v10, null, s23, 0, s0
	v_mov_b32_e32 v8, 0
	v_dual_mov_b32 v2, s13 :: v_dual_mov_b32 v3, s14
	v_mov_b32_e32 v6, 0
	v_dual_mov_b32 v20, 1 :: v_dual_mov_b32 v21, v5
	v_dual_mov_b32 v11, v13 :: v_dual_mov_b32 v12, v14
	s_mov_b32 s2, s17
	s_mov_b32 s3, s12
	s_branch .LBB3_37
.LBB3_35:                               ;   in Loop: Header=BB3_37 Depth=1
	s_or_b32 exec_lo, exec_lo, s0
.LBB3_36:                               ;   in Loop: Header=BB3_37 Depth=1
	s_delay_alu instid0(SALU_CYCLE_1) | instskip(SKIP_2) | instid1(VALU_DEP_2)
	s_or_b32 exec_lo, exec_lo, s1
	v_add_co_u32 v11, vcc_lo, v11, 1
	v_add_co_ci_u32_e32 v12, vcc_lo, 0, v12, vcc_lo
	v_add_co_u32 v15, vcc_lo, v13, v11
	s_delay_alu instid0(VALU_DEP_2) | instskip(NEXT) | instid1(VALU_DEP_1)
	v_add_co_ci_u32_e32 v16, vcc_lo, v14, v12, vcc_lo
	v_cmp_le_u64_e32 vcc_lo, s[2:3], v[15:16]
	s_or_b32 s12, vcc_lo, s12
	s_delay_alu instid0(SALU_CYCLE_1)
	s_and_not1_b32 exec_lo, exec_lo, s12
	s_cbranch_execz .LBB3_44
.LBB3_37:                               ; =>This Loop Header: Depth=1
                                        ;     Child Loop BB3_40 Depth 2
	s_delay_alu instid0(VALU_DEP_1)
	v_add_co_u32 v15, vcc_lo, v11, v13
	v_add_co_ci_u32_e32 v16, vcc_lo, v12, v14, vcc_lo
	s_mov_b32 s1, exec_lo
	s_clause 0xf
	scratch_store_b128 off, v[1:4], off
	scratch_store_b128 off, v[1:4], off offset:16
	scratch_store_b128 off, v[1:4], off offset:32
	;; [unrolled: 1-line block ×15, first 2 shown]
	v_cmpx_gt_u64_e64 s[2:3], v[15:16]
	s_cbranch_execz .LBB3_36
; %bb.38:                               ;   in Loop: Header=BB3_37 Depth=1
	v_mad_u64_u32 v[17:18], null, s18, v15, v[9:10]
	s_mov_b32 s14, 0
                                        ; implicit-def: $sgpr13
                                        ; implicit-def: $sgpr19
                                        ; implicit-def: $sgpr15
	s_delay_alu instid0(VALU_DEP_1) | instskip(NEXT) | instid1(VALU_DEP_1)
	v_mov_b32_e32 v15, v18
	v_mad_u64_u32 v[22:23], null, s18, v16, v[15:16]
	s_delay_alu instid0(VALU_DEP_1)
	v_mov_b32_e32 v18, v22
	s_set_inst_prefetch_distance 0x1
	s_branch .LBB3_40
	.p2align	6
.LBB3_39:                               ;   in Loop: Header=BB3_40 Depth=2
	s_or_b32 exec_lo, exec_lo, s26
	s_delay_alu instid0(SALU_CYCLE_1) | instskip(NEXT) | instid1(SALU_CYCLE_1)
	s_and_b32 s0, exec_lo, s19
	s_or_b32 s14, s0, s14
	s_and_not1_b32 s0, s13, exec_lo
	s_and_b32 s13, s15, exec_lo
	s_delay_alu instid0(SALU_CYCLE_1)
	s_or_b32 s13, s0, s13
	s_and_not1_b32 exec_lo, exec_lo, s14
	s_cbranch_execz .LBB3_42
.LBB3_40:                               ;   Parent Loop BB3_37 Depth=1
                                        ; =>  This Inner Loop Header: Depth=2
	global_load_u8 v22, v[17:18], off
	s_or_b32 s15, s15, exec_lo
	s_or_b32 s19, s19, exec_lo
	s_waitcnt vmcnt(0)
	scratch_load_u8 v15, v22, off
	s_waitcnt vmcnt(0)
	v_and_b32_e32 v15, 1, v15
	s_delay_alu instid0(VALU_DEP_1) | instskip(SKIP_2) | instid1(SALU_CYCLE_1)
	v_cmp_eq_u32_e32 vcc_lo, 1, v15
	v_dual_mov_b32 v16, v14 :: v_dual_mov_b32 v15, v13
                                        ; implicit-def: $vgpr13_vgpr14
	s_xor_b32 s0, vcc_lo, -1
	s_and_saveexec_b32 s26, s0
	s_cbranch_execz .LBB3_39
; %bb.41:                               ;   in Loop: Header=BB3_40 Depth=2
	s_delay_alu instid0(VALU_DEP_1) | instskip(SKIP_2) | instid1(VALU_DEP_3)
	v_add_co_u32 v13, vcc_lo, v15, 1
	v_add_co_ci_u32_e32 v14, vcc_lo, 0, v16, vcc_lo
	v_add_co_u32 v17, s0, v17, s18
	v_add_co_u32 v23, vcc_lo, v11, v13
	s_delay_alu instid0(VALU_DEP_3) | instskip(SKIP_2) | instid1(VALU_DEP_3)
	v_add_co_ci_u32_e32 v24, vcc_lo, v12, v14, vcc_lo
	v_add_nc_u32_e32 v22, 0, v22
	v_add_co_ci_u32_e64 v18, s0, 0, v18, s0
	v_cmp_le_u64_e32 vcc_lo, s[2:3], v[23:24]
	s_and_not1_b32 s0, s19, exec_lo
	s_and_not1_b32 s15, s15, exec_lo
	scratch_store_b8 v22, v20, off
	s_and_b32 s19, vcc_lo, exec_lo
	s_delay_alu instid0(SALU_CYCLE_1)
	s_or_b32 s19, s0, s19
	s_branch .LBB3_39
.LBB3_42:                               ;   in Loop: Header=BB3_37 Depth=1
	s_set_inst_prefetch_distance 0x2
	s_or_b32 exec_lo, exec_lo, s14
	s_and_saveexec_b32 s0, s13
	s_delay_alu instid0(SALU_CYCLE_1)
	s_xor_b32 s0, exec_lo, s0
	s_cbranch_execz .LBB3_35
; %bb.43:                               ;   in Loop: Header=BB3_37 Depth=1
	v_cvt_f64_u32_e32 v[13:14], v16
	v_cvt_f64_u32_e32 v[17:18], v15
	v_add_co_u32 v11, vcc_lo, v11, v15
	v_add_co_ci_u32_e32 v12, vcc_lo, v12, v16, vcc_lo
	v_cmp_gt_u64_e32 vcc_lo, v[15:16], v[5:6]
	v_add_nc_u32_e32 v21, 1, v21
	v_cndmask_b32_e32 v5, v5, v15, vcc_lo
	v_ldexp_f64 v[13:14], v[13:14], 32
	s_delay_alu instid0(VALU_DEP_1) | instskip(NEXT) | instid1(VALU_DEP_1)
	v_add_f64 v[13:14], v[13:14], v[17:18]
	v_add_f64 v[7:8], v[7:8], v[13:14]
	v_mov_b32_e32 v13, 0
	v_mov_b32_e32 v14, 0
	s_branch .LBB3_35
.LBB3_44:
	s_or_b32 exec_lo, exec_lo, s12
	v_cvt_f64_u32_e32 v[1:2], v21
	s_delay_alu instid0(VALU_DEP_1) | instskip(SKIP_1) | instid1(VALU_DEP_2)
	v_div_scale_f64 v[3:4], null, v[1:2], v[1:2], v[7:8]
	v_div_scale_f64 v[13:14], vcc_lo, v[7:8], v[1:2], v[7:8]
	v_rcp_f64_e32 v[9:10], v[3:4]
	s_waitcnt_depctr 0xfff
	v_fma_f64 v[11:12], -v[3:4], v[9:10], 1.0
	s_delay_alu instid0(VALU_DEP_1) | instskip(NEXT) | instid1(VALU_DEP_1)
	v_fma_f64 v[9:10], v[9:10], v[11:12], v[9:10]
	v_fma_f64 v[11:12], -v[3:4], v[9:10], 1.0
	s_delay_alu instid0(VALU_DEP_1) | instskip(NEXT) | instid1(VALU_DEP_1)
	v_fma_f64 v[9:10], v[9:10], v[11:12], v[9:10]
	v_mul_f64 v[11:12], v[13:14], v[9:10]
	s_delay_alu instid0(VALU_DEP_1) | instskip(NEXT) | instid1(VALU_DEP_1)
	v_fma_f64 v[3:4], -v[3:4], v[11:12], v[13:14]
	v_div_fmas_f64 v[3:4], v[3:4], v[9:10], v[11:12]
	s_delay_alu instid0(VALU_DEP_1)
	v_div_fixup_f64 v[1:2], v[3:4], v[1:2], v[7:8]
	v_cvt_f64_u32_e32 v[3:4], v5
	s_branch .LBB3_46
.LBB3_45:
	v_mov_b32_e32 v1, 0
	v_dual_mov_b32 v2, 0x7ff80000 :: v_dual_mov_b32 v3, 0
	v_mov_b32_e32 v4, 0
.LBB3_46:
	s_load_b64 s[0:1], s[6:7], 0x30
	v_dual_mov_b32 v5, 0x4c :: v_dual_mov_b32 v6, 0
	s_waitcnt lgkmcnt(0)
	s_delay_alu instid0(VALU_DEP_3) | instskip(NEXT) | instid1(VALU_DEP_2)
	v_cmp_eq_f64_e32 vcc_lo, s[0:1], v[1:2]
	v_cndmask_b32_e32 v5, 0x50, v5, vcc_lo
	v_cmp_nlt_f64_e32 vcc_lo, s[0:1], v[1:2]
	s_delay_alu instid0(VALU_DEP_2) | instskip(SKIP_1) | instid1(VALU_DEP_2)
	v_cndmask_b32_e32 v1, 0x48, v5, vcc_lo
	v_mov_b32_e32 v5, 1
	v_add_co_u32 v1, s0, s4, v1
	s_delay_alu instid0(VALU_DEP_1)
	v_add_co_ci_u32_e64 v2, null, s5, 0, s0
	s_mov_b32 s0, exec_lo
	global_atomic_add_u32 v[1:2], v5, off
	global_load_b64 v[5:6], v6, s[6:7] offset:56
                                        ; implicit-def: $vgpr1_vgpr2
	s_waitcnt vmcnt(0)
	v_cmpx_ngt_f64_e32 v[3:4], v[5:6]
	s_xor_b32 s2, exec_lo, s0
	s_cbranch_execz .LBB3_52
; %bb.47:
	s_mov_b32 s3, exec_lo
                                        ; implicit-def: $sgpr0_sgpr1
	v_cmpx_neq_f64_e32 v[3:4], v[5:6]
	s_xor_b32 s3, exec_lo, s3
; %bb.48:
	s_add_u32 s0, s4, 0x5c
	s_addc_u32 s1, s5, 0
; %bb.49:
	s_or_saveexec_b32 s3, s3
	v_dual_mov_b32 v2, s1 :: v_dual_mov_b32 v1, s0
	s_xor_b32 exec_lo, exec_lo, s3
; %bb.50:
	s_add_u32 s0, s4, 0x58
	s_addc_u32 s1, s5, 0
	s_delay_alu instid0(SALU_CYCLE_1)
	v_dual_mov_b32 v2, s1 :: v_dual_mov_b32 v1, s0
; %bb.51:
	s_or_b32 exec_lo, exec_lo, s3
.LBB3_52:
	s_and_not1_saveexec_b32 s0, s2
; %bb.53:
	s_add_u32 s2, s4, 0x54
	s_addc_u32 s3, s5, 0
	s_delay_alu instid0(SALU_CYCLE_1)
	v_dual_mov_b32 v1, s2 :: v_dual_mov_b32 v2, s3
; %bb.54:
	s_or_b32 exec_lo, exec_lo, s0
	s_mov_b32 s0, -1
	s_branch .LBB3_59
.LBB3_55:
	s_cmp_eq_u32 s25, 1
	s_cbranch_scc0 .LBB3_58
; %bb.56:
	s_cmp_gt_u32 s16, 1
	s_cbranch_scc1 .LBB3_60
; %bb.57:
	v_mov_b32_e32 v2, 0
	s_mov_b32 s12, 0
	s_mov_b64 s[0:1], 1.0
	s_mov_b64 s[2:3], 0
	s_branch .LBB3_61
.LBB3_58:
                                        ; implicit-def: $vgpr1_vgpr2
.LBB3_59:
	s_branch .LBB3_91
.LBB3_60:
	s_mov_b32 s12, -1
                                        ; implicit-def: $sgpr2_sgpr3
                                        ; implicit-def: $sgpr0_sgpr1
                                        ; implicit-def: $vgpr1_vgpr2
.LBB3_61:
	v_dual_mov_b32 v4, s3 :: v_dual_mov_b32 v3, s2
	v_dual_mov_b32 v6, s1 :: v_dual_mov_b32 v5, s0
	s_and_not1_b32 vcc_lo, exec_lo, s12
	s_cbranch_vccnz .LBB3_65
; %bb.62:
	global_load_u8 v1, v19, s[20:21]
	v_add3_u32 v0, s24, s18, v0
	s_add_i32 s0, s16, -1
	v_mov_b32_e32 v3, 1
	s_waitcnt vmcnt(0)
	v_cvt_f64_u32_e32 v[1:2], v1
	s_delay_alu instid0(VALU_DEP_1) | instskip(SKIP_1) | instid1(VALU_DEP_1)
	v_cmp_le_f64_e64 s1, s[10:11], v[1:2]
	v_mov_b32_e32 v2, 0
	v_dual_mov_b32 v4, 1 :: v_dual_mov_b32 v1, v2
	.p2align	6
.LBB3_63:                               ; =>This Inner Loop Header: Depth=1
	global_load_u8 v5, v0, s[20:21]
	s_add_i32 s0, s0, -1
	s_waitcnt vmcnt(0)
	v_cvt_f64_u32_e32 v[5:6], v5
	s_delay_alu instid0(VALU_DEP_1) | instskip(SKIP_2) | instid1(VALU_DEP_3)
	v_cmp_le_f64_e64 s2, s[10:11], v[5:6]
	v_add_nc_u32_e32 v5, 1, v4
	v_max_u32_e32 v6, v4, v1
	s_xor_b32 vcc_lo, s1, s2
	s_delay_alu instid0(VALU_DEP_1) | instskip(SKIP_4) | instid1(VALU_DEP_2)
	v_dual_cndmask_b32 v1, v1, v6 :: v_dual_add_nc_u32 v0, s18, v0
	v_cndmask_b32_e64 v7, 0, 1, vcc_lo
	v_cndmask_b32_e64 v4, v5, 1, vcc_lo
	s_cmp_lg_u32 s0, 0
	s_mov_b32 s1, s2
	v_add_nc_u32_e32 v3, v3, v7
	s_cbranch_scc1 .LBB3_63
; %bb.64:
	s_delay_alu instid0(VALU_DEP_1)
	v_cvt_f64_u32_e32 v[5:6], v3
	v_cvt_f64_u32_e32 v[3:4], v1
.LBB3_65:
	s_load_b64 s[0:1], s[6:7], 0x20
	s_waitcnt lgkmcnt(0)
	s_delay_alu instid0(VALU_DEP_1) | instskip(SKIP_4) | instid1(SALU_CYCLE_1)
	v_cmp_eq_f64_e32 vcc_lo, s[0:1], v[5:6]
	v_cndmask_b32_e64 v0, 56, 52, vcc_lo
	v_cmp_nlt_f64_e32 vcc_lo, s[0:1], v[5:6]
	v_mov_b32_e32 v5, 0
	s_add_i32 s1, s17, -1
	s_cmp_lt_u32 s1, 2
	v_dual_cndmask_b32 v1, 48, v0 :: v_dual_mov_b32 v0, 1
	s_delay_alu instid0(VALU_DEP_1) | instskip(NEXT) | instid1(VALU_DEP_1)
	v_add_co_u32 v6, s0, s4, v1
	v_add_co_ci_u32_e64 v7, null, s5, 0, s0
	global_atomic_add_u32 v[6:7], v0, off
	global_load_b64 v[6:7], v5, s[6:7] offset:40
	s_waitcnt vmcnt(0)
	v_cmp_eq_f64_e32 vcc_lo, v[3:4], v[6:7]
	v_cndmask_b32_e64 v1, 0x44, 64, vcc_lo
	v_cmp_ngt_f64_e32 vcc_lo, v[3:4], v[6:7]
	s_delay_alu instid0(VALU_DEP_2) | instskip(NEXT) | instid1(VALU_DEP_1)
	v_cndmask_b32_e32 v1, 60, v1, vcc_lo
	v_add_co_u32 v3, s0, s4, v1
	v_add_co_u32 v1, vcc_lo, s22, v19
	v_add_co_ci_u32_e64 v4, null, s5, 0, s0
	v_add_co_ci_u32_e32 v2, vcc_lo, s23, v2, vcc_lo
	global_atomic_add_u32 v[3:4], v0, off
	global_load_u8 v1, v[1:2], off
	v_add_nc_u32_e32 v2, s18, v19
	global_load_u8 v2, v2, s[22:23]
	s_waitcnt vmcnt(1)
	v_lshrrev_b16 v3, 7, v1
	v_lshrrev_b16 v4, 6, v1
	v_lshrrev_b16 v6, 5, v1
	v_lshrrev_b16 v7, 4, v1
	v_lshrrev_b16 v8, 3, v1
	v_lshrrev_b16 v9, 2, v1
	v_and_b32_e32 v4, 1, v4
	v_lshrrev_b16 v10, 1, v1
	v_and_b32_e32 v1, 1, v1
	s_waitcnt vmcnt(0)
	v_lshrrev_b16 v11, 7, v2
	v_lshrrev_b16 v12, 6, v2
	v_and_b32_e32 v13, 1, v2
	v_lshrrev_b16 v14, 5, v2
	v_add_nc_u16 v1, v1, v3
	v_and_b32_e32 v6, 1, v6
	v_and_b32_e32 v3, 1, v12
	v_add_nc_u16 v11, v13, v11
	v_lshrrev_b16 v12, 4, v2
	v_and_b32_e32 v13, 1, v14
	v_add_nc_u16 v1, v1, v4
	v_lshrrev_b16 v4, 3, v2
	v_add_nc_u16 v3, v11, v3
	v_and_b32_e32 v7, 1, v7
	v_and_b32_e32 v11, 1, v12
	v_add_nc_u16 v1, v1, v6
	v_lshrrev_b16 v6, 2, v2
	v_add_nc_u16 v3, v3, v13
	v_and_b32_e32 v8, 1, v8
	;; [unrolled: 5-line block ×3, first 2 shown]
	v_and_b32_e32 v6, 1, v6
	v_add_nc_u16 v1, v1, v8
	v_and_b32_e32 v2, 1, v2
	v_add_nc_u16 v3, v3, v4
	v_and_b32_e32 v4, 1, v10
	s_delay_alu instid0(VALU_DEP_4) | instskip(NEXT) | instid1(VALU_DEP_3)
	v_add_nc_u16 v1, v1, v7
	v_add_nc_u16 v3, v3, v6
	s_delay_alu instid0(VALU_DEP_2) | instskip(NEXT) | instid1(VALU_DEP_2)
	v_add_nc_u16 v1, v1, v4
	v_add_nc_u16 v2, v3, v2
	s_delay_alu instid0(VALU_DEP_2) | instskip(NEXT) | instid1(VALU_DEP_2)
	v_and_b32_e32 v1, 0xff, v1
	v_and_b32_e32 v2, 0xff, v2
	s_delay_alu instid0(VALU_DEP_1)
	v_cmp_le_u16_e64 s0, v1, v2
	s_cbranch_scc1 .LBB3_69
; %bb.66:
	v_dual_mov_b32 v1, 0 :: v_dual_mov_b32 v2, 1
	v_mov_b32_e32 v3, v19
	v_mov_b32_e32 v5, 0
	s_add_i32 s1, s17, -2
	s_lshl_b32 s2, s18, 1
                                        ; implicit-def: $sgpr3
.LBB3_67:                               ; =>This Inner Loop Header: Depth=1
	s_delay_alu instid0(VALU_DEP_2)
	v_add_nc_u32_e32 v4, s18, v3
	v_add_nc_u32_e32 v3, s2, v3
	s_and_not1_b32 s3, s3, exec_lo
	s_add_i32 s1, s1, -1
	s_clause 0x1
	global_load_u8 v6, v4, s[22:23]
	global_load_u8 v3, v3, s[22:23]
	s_waitcnt vmcnt(1)
	v_lshrrev_b16 v7, 7, v6
	v_lshrrev_b16 v8, 6, v6
	;; [unrolled: 1-line block ×7, first 2 shown]
	v_and_b32_e32 v6, 1, v6
	s_waitcnt vmcnt(0)
	v_lshrrev_b16 v14, 7, v3
	v_lshrrev_b16 v15, 6, v3
	v_and_b32_e32 v21, 1, v3
	v_lshrrev_b16 v16, 5, v3
	v_and_b32_e32 v8, 1, v8
	v_add_nc_u16 v6, v6, v7
	v_and_b32_e32 v7, 1, v15
	v_add_nc_u16 v14, v21, v14
	v_lshrrev_b16 v17, 4, v3
	v_and_b32_e32 v9, 1, v9
	v_and_b32_e32 v15, 1, v16
	v_add_nc_u16 v6, v6, v8
	v_add_nc_u16 v7, v14, v7
	v_lshrrev_b16 v18, 3, v3
	v_and_b32_e32 v8, 1, v10
	v_and_b32_e32 v10, 1, v17
	v_add_nc_u16 v6, v6, v9
	;; [unrolled: 5-line block ×4, first 2 shown]
	v_add_nc_u16 v7, v7, v11
	v_and_b32_e32 v9, 1, v13
	v_and_b32_e32 v3, 1, v3
	s_delay_alu instid0(VALU_DEP_4) | instskip(NEXT) | instid1(VALU_DEP_4)
	v_add_nc_u16 v6, v6, v8
	v_add_nc_u16 v7, v7, v10
	v_add_nc_u32_e32 v8, 1, v0
	s_delay_alu instid0(VALU_DEP_3) | instskip(NEXT) | instid1(VALU_DEP_3)
	v_add_nc_u16 v6, v6, v9
	v_add_nc_u16 v3, v7, v3
	v_cndmask_b32_e64 v7, 0, 1, s0
	v_max_u32_e32 v9, v0, v1
	s_delay_alu instid0(VALU_DEP_4) | instskip(NEXT) | instid1(VALU_DEP_4)
	v_and_b32_e32 v6, 0xff, v6
	v_and_b32_e32 v3, 0xff, v3
	s_delay_alu instid0(VALU_DEP_4) | instskip(NEXT) | instid1(VALU_DEP_2)
	v_add_nc_u32_e32 v5, v5, v7
	v_cmp_le_u16_e64 s10, v6, v3
	s_delay_alu instid0(VALU_DEP_1)
	s_xor_b32 vcc_lo, s0, s10
	s_and_b32 s0, s10, exec_lo
	v_cndmask_b32_e64 v6, 0, 1, vcc_lo
	v_cndmask_b32_e64 v0, v8, 1, vcc_lo
	v_cndmask_b32_e32 v1, v1, v9, vcc_lo
	v_mov_b32_e32 v3, v4
	s_or_b32 s3, s3, s0
	v_add_nc_u32_e32 v2, v2, v6
	s_cmp_lg_u32 s1, 0
	s_mov_b32 s0, s10
	s_cbranch_scc1 .LBB3_67
; %bb.68:
	s_delay_alu instid0(VALU_DEP_1)
	v_cvt_f64_u32_e32 v[2:3], v2
	v_cvt_f64_u32_e32 v[0:1], v1
	s_mov_b32 s0, s3
	s_branch .LBB3_70
.LBB3_69:
	v_mov_b32_e32 v0, 0
	v_dual_mov_b32 v1, 0 :: v_dual_mov_b32 v2, 0
	v_mov_b32_e32 v3, 0x3ff00000
.LBB3_70:
	v_mov_b32_e32 v4, 0
	global_load_b64 v[6:7], v4, s[6:7] offset:8
	s_waitcnt vmcnt(0)
	v_cmp_eq_f64_e32 vcc_lo, v[2:3], v[6:7]
	v_cndmask_b32_e64 v8, 20, 16, vcc_lo
	v_cmp_ngt_f64_e32 vcc_lo, v[2:3], v[6:7]
	v_mov_b32_e32 v6, 1
	s_delay_alu instid0(VALU_DEP_3) | instskip(NEXT) | instid1(VALU_DEP_1)
	v_cndmask_b32_e32 v2, 12, v8, vcc_lo
	v_add_co_u32 v2, s1, s4, v2
	s_delay_alu instid0(VALU_DEP_1)
	v_add_co_ci_u32_e64 v3, null, s5, 0, s1
	global_atomic_add_u32 v[2:3], v6, off
	global_load_b64 v[2:3], v4, s[6:7] offset:16
	s_waitcnt vmcnt(0)
	v_cmp_eq_f64_e32 vcc_lo, v[0:1], v[2:3]
	v_cndmask_b32_e64 v7, 32, 28, vcc_lo
	v_cmp_ngt_f64_e32 vcc_lo, v[0:1], v[2:3]
	s_delay_alu instid0(VALU_DEP_2) | instskip(NEXT) | instid1(VALU_DEP_1)
	v_cndmask_b32_e32 v0, 24, v7, vcc_lo
	v_add_co_u32 v0, s1, s4, v0
	s_delay_alu instid0(VALU_DEP_1) | instskip(SKIP_4) | instid1(VALU_DEP_1)
	v_add_co_ci_u32_e64 v1, null, s5, 0, s1
	global_atomic_add_u32 v[0:1], v6, off
	global_load_b64 v[3:4], v4, s[6:7] offset:24
	v_cndmask_b32_e64 v0, 0, 1, s0
	s_mov_b32 s0, exec_lo
	v_add_nc_u32_e32 v0, v5, v0
	s_delay_alu instid0(VALU_DEP_1) | instskip(NEXT) | instid1(VALU_DEP_1)
	v_sub_nc_u32_e32 v1, s17, v0
	v_max_u32_e32 v0, v0, v1
                                        ; implicit-def: $vgpr1_vgpr2
	s_delay_alu instid0(VALU_DEP_1) | instskip(SKIP_1) | instid1(VALU_DEP_1)
	v_cvt_f64_u32_e32 v[5:6], v0
	s_waitcnt vmcnt(0)
	v_cmpx_nlt_f64_e32 v[3:4], v[5:6]
	s_xor_b32 s2, exec_lo, s0
	s_cbranch_execz .LBB3_76
; %bb.71:
	s_mov_b32 s3, exec_lo
                                        ; implicit-def: $sgpr0_sgpr1
	v_cmpx_neq_f64_e32 v[3:4], v[5:6]
	s_xor_b32 s3, exec_lo, s3
; %bb.72:
	s_add_u32 s0, s4, 44
	s_addc_u32 s1, s5, 0
; %bb.73:
	s_or_saveexec_b32 s3, s3
	v_dual_mov_b32 v2, s1 :: v_dual_mov_b32 v1, s0
	s_xor_b32 exec_lo, exec_lo, s3
; %bb.74:
	s_add_u32 s0, s4, 40
	s_addc_u32 s1, s5, 0
	s_delay_alu instid0(SALU_CYCLE_1)
	v_dual_mov_b32 v2, s1 :: v_dual_mov_b32 v1, s0
; %bb.75:
	s_or_b32 exec_lo, exec_lo, s3
.LBB3_76:
	s_and_not1_saveexec_b32 s0, s2
; %bb.77:
	s_add_u32 s2, s4, 36
	s_addc_u32 s3, s5, 0
	s_delay_alu instid0(SALU_CYCLE_1)
	v_dual_mov_b32 v1, s2 :: v_dual_mov_b32 v2, s3
; %bb.78:
	s_or_b32 exec_lo, exec_lo, s0
	s_mov_b32 s0, -1
	s_branch .LBB3_91
.LBB3_79:
	s_cmp_eq_u32 s16, 0
	s_mov_b32 s17, 0
	s_cbranch_scc1 .LBB3_83
; %bb.80:
	v_mov_b32_e32 v0, 0
	v_mov_b32_e32 v1, 0
	v_add_co_u32 v2, s0, s20, v19
	s_delay_alu instid0(VALU_DEP_1) | instskip(NEXT) | instid1(VALU_DEP_3)
	v_add_co_ci_u32_e64 v3, null, s21, 0, s0
	v_dual_mov_b32 v5, v1 :: v_dual_mov_b32 v4, v0
	s_mov_b64 s[2:3], 0
	.p2align	6
.LBB3_81:                               ; =>This Inner Loop Header: Depth=1
	global_load_u8 v10, v[2:3], off
	s_add_u32 s2, s2, 1
	s_addc_u32 s3, s3, 0
	v_cvt_f64_u32_e32 v[8:9], s2
	v_cvt_f64_u32_e32 v[6:7], s3
	v_add_co_u32 v2, s0, v2, s18
	s_delay_alu instid0(VALU_DEP_1) | instskip(SKIP_1) | instid1(VALU_DEP_3)
	v_add_co_ci_u32_e64 v3, s0, 0, v3, s0
	s_cmp_lg_u64 s[16:17], s[2:3]
	v_ldexp_f64 v[6:7], v[6:7], 32
	s_delay_alu instid0(VALU_DEP_1) | instskip(SKIP_2) | instid1(VALU_DEP_1)
	v_add_f64 v[6:7], v[6:7], v[8:9]
	s_waitcnt vmcnt(0)
	v_cvt_f64_u32_e32 v[10:11], v10
	v_add_f64 v[0:1], v[0:1], v[10:11]
	s_delay_alu instid0(VALU_DEP_1) | instskip(NEXT) | instid1(VALU_DEP_1)
	v_fma_f64 v[6:7], -v[6:7], s[8:9], v[0:1]
	v_cmp_lt_f64_e64 vcc_lo, v[4:5], |v[6:7]|
	v_and_b32_e32 v8, 0x7fffffff, v7
	s_delay_alu instid0(VALU_DEP_1)
	v_dual_cndmask_b32 v5, v5, v8 :: v_dual_cndmask_b32 v4, v4, v6
	s_cbranch_scc1 .LBB3_81
; %bb.82:
	s_delay_alu instid0(VALU_DEP_1)
	v_cvt_f32_f64_e32 v0, v[4:5]
	s_branch .LBB3_84
.LBB3_83:
	v_mov_b32_e32 v0, 0
.LBB3_84:
	s_load_b64 s[0:1], s[6:7], 0x0
	v_dual_mov_b32 v1, s4 :: v_dual_mov_b32 v2, s5
	s_mov_b32 s2, exec_lo
	s_waitcnt lgkmcnt(0)
	v_cvt_f32_f64_e32 v3, s[0:1]
	s_delay_alu instid0(VALU_DEP_1)
	v_cmpx_ngt_f32_e32 v0, v3
	s_cbranch_execz .LBB3_90
; %bb.85:
	s_mov_b32 s3, exec_lo
                                        ; implicit-def: $sgpr0_sgpr1
	v_cmpx_neq_f32_e32 v0, v3
	s_xor_b32 s3, exec_lo, s3
; %bb.86:
	s_add_u32 s0, s4, 8
	s_addc_u32 s1, s5, 0
; %bb.87:
	s_or_saveexec_b32 s3, s3
	v_dual_mov_b32 v2, s1 :: v_dual_mov_b32 v1, s0
	s_xor_b32 exec_lo, exec_lo, s3
; %bb.88:
	s_add_u32 s0, s4, 4
	s_addc_u32 s1, s5, 0
	s_delay_alu instid0(SALU_CYCLE_1)
	v_dual_mov_b32 v2, s1 :: v_dual_mov_b32 v1, s0
; %bb.89:
	s_or_b32 exec_lo, exec_lo, s3
.LBB3_90:
	s_delay_alu instid0(SALU_CYCLE_1)
	s_or_b32 exec_lo, exec_lo, s2
	s_mov_b32 s0, -1
.LBB3_91:
	s_delay_alu instid0(SALU_CYCLE_1)
	s_and_b32 vcc_lo, exec_lo, s0
	s_cbranch_vccnz .LBB3_93
; %bb.92:
	s_endpgm
.LBB3_93:
	v_mov_b32_e32 v0, 1
	global_atomic_add_u32 v[1:2], v0, off
	s_endpgm
	.section	.rodata,"a",@progbits
	.p2align	6, 0x0
	.amdhsa_kernel _Z31binary_statistical_tests_kernelPjPKdddPKhS3_jjjjj
		.amdhsa_group_segment_fixed_size 0
		.amdhsa_private_segment_fixed_size 272
		.amdhsa_kernarg_size 328
		.amdhsa_user_sgpr_count 15
		.amdhsa_user_sgpr_dispatch_ptr 0
		.amdhsa_user_sgpr_queue_ptr 0
		.amdhsa_user_sgpr_kernarg_segment_ptr 1
		.amdhsa_user_sgpr_dispatch_id 0
		.amdhsa_user_sgpr_private_segment_size 0
		.amdhsa_wavefront_size32 1
		.amdhsa_uses_dynamic_stack 0
		.amdhsa_enable_private_segment 1
		.amdhsa_system_sgpr_workgroup_id_x 1
		.amdhsa_system_sgpr_workgroup_id_y 0
		.amdhsa_system_sgpr_workgroup_id_z 0
		.amdhsa_system_sgpr_workgroup_info 0
		.amdhsa_system_vgpr_workitem_id 0
		.amdhsa_next_free_vgpr 25
		.amdhsa_next_free_sgpr 27
		.amdhsa_reserve_vcc 1
		.amdhsa_float_round_mode_32 0
		.amdhsa_float_round_mode_16_64 0
		.amdhsa_float_denorm_mode_32 3
		.amdhsa_float_denorm_mode_16_64 3
		.amdhsa_dx10_clamp 1
		.amdhsa_ieee_mode 1
		.amdhsa_fp16_overflow 0
		.amdhsa_workgroup_processor_mode 1
		.amdhsa_memory_ordered 1
		.amdhsa_forward_progress 0
		.amdhsa_shared_vgpr_count 0
		.amdhsa_exception_fp_ieee_invalid_op 0
		.amdhsa_exception_fp_denorm_src 0
		.amdhsa_exception_fp_ieee_div_zero 0
		.amdhsa_exception_fp_ieee_overflow 0
		.amdhsa_exception_fp_ieee_underflow 0
		.amdhsa_exception_fp_ieee_inexact 0
		.amdhsa_exception_int_div_zero 0
	.end_amdhsa_kernel
	.text
.Lfunc_end3:
	.size	_Z31binary_statistical_tests_kernelPjPKdddPKhS3_jjjjj, .Lfunc_end3-_Z31binary_statistical_tests_kernelPjPKdddPKhS3_jjjjj
                                        ; -- End function
	.section	.AMDGPU.csdata,"",@progbits
; Kernel info:
; codeLenInByte = 6544
; NumSgprs: 29
; NumVgprs: 25
; ScratchSize: 272
; MemoryBound: 0
; FloatMode: 240
; IeeeMode: 1
; LDSByteSize: 0 bytes/workgroup (compile time only)
; SGPRBlocks: 3
; VGPRBlocks: 3
; NumSGPRsForWavesPerEU: 29
; NumVGPRsForWavesPerEU: 25
; Occupancy: 16
; WaveLimiterHint : 0
; COMPUTE_PGM_RSRC2:SCRATCH_EN: 1
; COMPUTE_PGM_RSRC2:USER_SGPR: 15
; COMPUTE_PGM_RSRC2:TRAP_HANDLER: 0
; COMPUTE_PGM_RSRC2:TGID_X_EN: 1
; COMPUTE_PGM_RSRC2:TGID_Y_EN: 0
; COMPUTE_PGM_RSRC2:TGID_Z_EN: 0
; COMPUTE_PGM_RSRC2:TIDIG_COMP_CNT: 0
	.text
	.p2alignl 7, 3214868480
	.fill 96, 4, 3214868480
	.type	__hip_cuid_17179019376c1f88,@object ; @__hip_cuid_17179019376c1f88
	.section	.bss,"aw",@nobits
	.globl	__hip_cuid_17179019376c1f88
__hip_cuid_17179019376c1f88:
	.byte	0                               ; 0x0
	.size	__hip_cuid_17179019376c1f88, 1

	.ident	"AMD clang version 19.0.0git (https://github.com/RadeonOpenCompute/llvm-project roc-6.4.0 25133 c7fe45cf4b819c5991fe208aaa96edf142730f1d)"
	.section	".note.GNU-stack","",@progbits
	.addrsig
	.addrsig_sym __hip_cuid_17179019376c1f88
	.amdgpu_metadata
---
amdhsa.kernels:
  - .args:
      - .address_space:  global
        .offset:         0
        .size:           8
        .value_kind:     global_buffer
      - .address_space:  global
        .offset:         8
        .size:           8
        .value_kind:     global_buffer
      - .offset:         16
        .size:           4
        .value_kind:     by_value
      - .offset:         20
        .size:           4
        .value_kind:     by_value
      - .offset:         24
        .size:           4
        .value_kind:     hidden_block_count_x
      - .offset:         28
        .size:           4
        .value_kind:     hidden_block_count_y
      - .offset:         32
        .size:           4
        .value_kind:     hidden_block_count_z
      - .offset:         36
        .size:           2
        .value_kind:     hidden_group_size_x
      - .offset:         38
        .size:           2
        .value_kind:     hidden_group_size_y
      - .offset:         40
        .size:           2
        .value_kind:     hidden_group_size_z
      - .offset:         42
        .size:           2
        .value_kind:     hidden_remainder_x
      - .offset:         44
        .size:           2
        .value_kind:     hidden_remainder_y
      - .offset:         46
        .size:           2
        .value_kind:     hidden_remainder_z
      - .offset:         64
        .size:           8
        .value_kind:     hidden_global_offset_x
      - .offset:         72
        .size:           8
        .value_kind:     hidden_global_offset_y
      - .offset:         80
        .size:           8
        .value_kind:     hidden_global_offset_z
      - .offset:         88
        .size:           2
        .value_kind:     hidden_grid_dims
    .group_segment_fixed_size: 0
    .kernarg_segment_align: 8
    .kernarg_segment_size: 280
    .language:       OpenCL C
    .language_version:
      - 2
      - 0
    .max_flat_workgroup_size: 1024
    .name:           _Z16shuffling_kernelPhPKhjj
    .private_segment_fixed_size: 0
    .sgpr_count:     18
    .sgpr_spill_count: 0
    .symbol:         _Z16shuffling_kernelPhPKhjj.kd
    .uniform_work_group_size: 1
    .uses_dynamic_stack: false
    .vgpr_count:     13
    .vgpr_spill_count: 0
    .wavefront_size: 32
    .workgroup_processor_mode: 1
  - .args:
      - .address_space:  global
        .offset:         0
        .size:           8
        .value_kind:     global_buffer
      - .address_space:  global
        .offset:         8
        .size:           8
        .value_kind:     global_buffer
      - .offset:         16
        .size:           8
        .value_kind:     by_value
      - .offset:         24
        .size:           8
        .value_kind:     by_value
      - .address_space:  global
        .offset:         32
        .size:           8
        .value_kind:     global_buffer
      - .offset:         40
        .size:           4
        .value_kind:     by_value
      - .offset:         44
        .size:           4
        .value_kind:     by_value
      - .offset:         48
        .size:           4
        .value_kind:     by_value
      - .offset:         52
        .size:           4
        .value_kind:     by_value
      - .offset:         56
        .size:           4
        .value_kind:     hidden_block_count_x
      - .offset:         60
        .size:           4
        .value_kind:     hidden_block_count_y
      - .offset:         64
        .size:           4
        .value_kind:     hidden_block_count_z
      - .offset:         68
        .size:           2
        .value_kind:     hidden_group_size_x
      - .offset:         70
        .size:           2
        .value_kind:     hidden_group_size_y
      - .offset:         72
        .size:           2
        .value_kind:     hidden_group_size_z
      - .offset:         74
        .size:           2
        .value_kind:     hidden_remainder_x
      - .offset:         76
        .size:           2
        .value_kind:     hidden_remainder_y
      - .offset:         78
        .size:           2
        .value_kind:     hidden_remainder_z
      - .offset:         96
        .size:           8
        .value_kind:     hidden_global_offset_x
      - .offset:         104
        .size:           8
        .value_kind:     hidden_global_offset_y
      - .offset:         112
        .size:           8
        .value_kind:     hidden_global_offset_z
      - .offset:         120
        .size:           2
        .value_kind:     hidden_grid_dims
    .group_segment_fixed_size: 0
    .kernarg_segment_align: 8
    .kernarg_segment_size: 312
    .language:       OpenCL C
    .language_version:
      - 2
      - 0
    .max_flat_workgroup_size: 1024
    .name:           _Z24statistical_tests_kernelPjPKdddPKhjjjj
    .private_segment_fixed_size: 272
    .sgpr_count:     25
    .sgpr_spill_count: 0
    .symbol:         _Z24statistical_tests_kernelPjPKdddPKhjjjj.kd
    .uniform_work_group_size: 1
    .uses_dynamic_stack: false
    .vgpr_count:     19
    .vgpr_spill_count: 0
    .wavefront_size: 32
    .workgroup_processor_mode: 1
  - .args:
      - .address_space:  global
        .offset:         0
        .size:           8
        .value_kind:     global_buffer
      - .address_space:  global
        .offset:         8
        .size:           8
        .value_kind:     global_buffer
      - .address_space:  global
        .offset:         16
        .size:           8
        .value_kind:     global_buffer
      - .offset:         24
        .size:           4
        .value_kind:     by_value
      - .offset:         28
        .size:           4
        .value_kind:     by_value
      - .offset:         32
        .size:           4
        .value_kind:     by_value
      - .offset:         40
        .size:           4
        .value_kind:     hidden_block_count_x
      - .offset:         44
        .size:           4
        .value_kind:     hidden_block_count_y
      - .offset:         48
        .size:           4
        .value_kind:     hidden_block_count_z
      - .offset:         52
        .size:           2
        .value_kind:     hidden_group_size_x
      - .offset:         54
        .size:           2
        .value_kind:     hidden_group_size_y
      - .offset:         56
        .size:           2
        .value_kind:     hidden_group_size_z
      - .offset:         58
        .size:           2
        .value_kind:     hidden_remainder_x
      - .offset:         60
        .size:           2
        .value_kind:     hidden_remainder_y
      - .offset:         62
        .size:           2
        .value_kind:     hidden_remainder_z
      - .offset:         80
        .size:           8
        .value_kind:     hidden_global_offset_x
      - .offset:         88
        .size:           8
        .value_kind:     hidden_global_offset_y
      - .offset:         96
        .size:           8
        .value_kind:     hidden_global_offset_z
      - .offset:         104
        .size:           2
        .value_kind:     hidden_grid_dims
    .group_segment_fixed_size: 0
    .kernarg_segment_align: 8
    .kernarg_segment_size: 296
    .language:       OpenCL C
    .language_version:
      - 2
      - 0
    .max_flat_workgroup_size: 1024
    .name:           _Z23binary_shuffling_kernelPhS_PKhjjj
    .private_segment_fixed_size: 0
    .sgpr_count:     18
    .sgpr_spill_count: 0
    .symbol:         _Z23binary_shuffling_kernelPhS_PKhjjj.kd
    .uniform_work_group_size: 1
    .uses_dynamic_stack: false
    .vgpr_count:     17
    .vgpr_spill_count: 0
    .wavefront_size: 32
    .workgroup_processor_mode: 1
  - .args:
      - .address_space:  global
        .offset:         0
        .size:           8
        .value_kind:     global_buffer
      - .address_space:  global
        .offset:         8
        .size:           8
        .value_kind:     global_buffer
      - .offset:         16
        .size:           8
        .value_kind:     by_value
      - .offset:         24
        .size:           8
        .value_kind:     by_value
      - .address_space:  global
        .offset:         32
        .size:           8
        .value_kind:     global_buffer
      - .address_space:  global
        .offset:         40
        .size:           8
        .value_kind:     global_buffer
      - .offset:         48
        .size:           4
        .value_kind:     by_value
      - .offset:         52
        .size:           4
        .value_kind:     by_value
      - .offset:         56
        .size:           4
        .value_kind:     by_value
      - .offset:         60
        .size:           4
        .value_kind:     by_value
      - .offset:         64
        .size:           4
        .value_kind:     by_value
      - .offset:         72
        .size:           4
        .value_kind:     hidden_block_count_x
      - .offset:         76
        .size:           4
        .value_kind:     hidden_block_count_y
      - .offset:         80
        .size:           4
        .value_kind:     hidden_block_count_z
      - .offset:         84
        .size:           2
        .value_kind:     hidden_group_size_x
      - .offset:         86
        .size:           2
        .value_kind:     hidden_group_size_y
      - .offset:         88
        .size:           2
        .value_kind:     hidden_group_size_z
      - .offset:         90
        .size:           2
        .value_kind:     hidden_remainder_x
      - .offset:         92
        .size:           2
        .value_kind:     hidden_remainder_y
      - .offset:         94
        .size:           2
        .value_kind:     hidden_remainder_z
      - .offset:         112
        .size:           8
        .value_kind:     hidden_global_offset_x
      - .offset:         120
        .size:           8
        .value_kind:     hidden_global_offset_y
      - .offset:         128
        .size:           8
        .value_kind:     hidden_global_offset_z
      - .offset:         136
        .size:           2
        .value_kind:     hidden_grid_dims
    .group_segment_fixed_size: 0
    .kernarg_segment_align: 8
    .kernarg_segment_size: 328
    .language:       OpenCL C
    .language_version:
      - 2
      - 0
    .max_flat_workgroup_size: 1024
    .name:           _Z31binary_statistical_tests_kernelPjPKdddPKhS3_jjjjj
    .private_segment_fixed_size: 272
    .sgpr_count:     29
    .sgpr_spill_count: 0
    .symbol:         _Z31binary_statistical_tests_kernelPjPKdddPKhS3_jjjjj.kd
    .uniform_work_group_size: 1
    .uses_dynamic_stack: false
    .vgpr_count:     25
    .vgpr_spill_count: 0
    .wavefront_size: 32
    .workgroup_processor_mode: 1
amdhsa.target:   amdgcn-amd-amdhsa--gfx1100
amdhsa.version:
  - 1
  - 2
...

	.end_amdgpu_metadata
